;; amdgpu-corpus repo=ggml-org/llama.cpp kind=compiled arch=gfx906 opt=O3
	.amdgcn_target "amdgcn-amd-amdhsa--gfx906"
	.amdhsa_code_object_version 6
	.section	.text._ZL15unary_op_kernelIXadL_ZL6op_absfEE6__halfEvPKT0_PS1_i,"axG",@progbits,_ZL15unary_op_kernelIXadL_ZL6op_absfEE6__halfEvPKT0_PS1_i,comdat
	.globl	_ZL15unary_op_kernelIXadL_ZL6op_absfEE6__halfEvPKT0_PS1_i ; -- Begin function _ZL15unary_op_kernelIXadL_ZL6op_absfEE6__halfEvPKT0_PS1_i
	.p2align	8
	.type	_ZL15unary_op_kernelIXadL_ZL6op_absfEE6__halfEvPKT0_PS1_i,@function
_ZL15unary_op_kernelIXadL_ZL6op_absfEE6__halfEvPKT0_PS1_i: ; @_ZL15unary_op_kernelIXadL_ZL6op_absfEE6__halfEvPKT0_PS1_i
; %bb.0:
	s_load_dword s0, s[4:5], 0x24
	s_load_dword s1, s[4:5], 0x10
	s_waitcnt lgkmcnt(0)
	s_and_b32 s0, s0, 0xffff
	s_mul_i32 s6, s6, s0
	v_add_u32_e32 v0, s6, v0
	v_cmp_gt_i32_e32 vcc, s1, v0
	s_and_saveexec_b64 s[0:1], vcc
	s_cbranch_execz .LBB0_2
; %bb.1:
	s_load_dwordx4 s[0:3], s[4:5], 0x0
	v_ashrrev_i32_e32 v1, 31, v0
	v_lshlrev_b64 v[0:1], 1, v[0:1]
	s_waitcnt lgkmcnt(0)
	v_mov_b32_e32 v3, s1
	v_add_co_u32_e32 v2, vcc, s0, v0
	v_addc_co_u32_e32 v3, vcc, v3, v1, vcc
	global_load_ushort v2, v[2:3], off
	v_mov_b32_e32 v3, s3
	v_add_co_u32_e32 v0, vcc, s2, v0
	v_addc_co_u32_e32 v1, vcc, v3, v1, vcc
	s_waitcnt vmcnt(0)
	v_and_b32_e32 v2, 0x7fff, v2
	global_store_short v[0:1], v2, off
.LBB0_2:
	s_endpgm
	.section	.rodata,"a",@progbits
	.p2align	6, 0x0
	.amdhsa_kernel _ZL15unary_op_kernelIXadL_ZL6op_absfEE6__halfEvPKT0_PS1_i
		.amdhsa_group_segment_fixed_size 0
		.amdhsa_private_segment_fixed_size 0
		.amdhsa_kernarg_size 280
		.amdhsa_user_sgpr_count 6
		.amdhsa_user_sgpr_private_segment_buffer 1
		.amdhsa_user_sgpr_dispatch_ptr 0
		.amdhsa_user_sgpr_queue_ptr 0
		.amdhsa_user_sgpr_kernarg_segment_ptr 1
		.amdhsa_user_sgpr_dispatch_id 0
		.amdhsa_user_sgpr_flat_scratch_init 0
		.amdhsa_user_sgpr_private_segment_size 0
		.amdhsa_uses_dynamic_stack 0
		.amdhsa_system_sgpr_private_segment_wavefront_offset 0
		.amdhsa_system_sgpr_workgroup_id_x 1
		.amdhsa_system_sgpr_workgroup_id_y 0
		.amdhsa_system_sgpr_workgroup_id_z 0
		.amdhsa_system_sgpr_workgroup_info 0
		.amdhsa_system_vgpr_workitem_id 0
		.amdhsa_next_free_vgpr 4
		.amdhsa_next_free_sgpr 7
		.amdhsa_reserve_vcc 1
		.amdhsa_reserve_flat_scratch 0
		.amdhsa_float_round_mode_32 0
		.amdhsa_float_round_mode_16_64 0
		.amdhsa_float_denorm_mode_32 3
		.amdhsa_float_denorm_mode_16_64 3
		.amdhsa_dx10_clamp 1
		.amdhsa_ieee_mode 1
		.amdhsa_fp16_overflow 0
		.amdhsa_exception_fp_ieee_invalid_op 0
		.amdhsa_exception_fp_denorm_src 0
		.amdhsa_exception_fp_ieee_div_zero 0
		.amdhsa_exception_fp_ieee_overflow 0
		.amdhsa_exception_fp_ieee_underflow 0
		.amdhsa_exception_fp_ieee_inexact 0
		.amdhsa_exception_int_div_zero 0
	.end_amdhsa_kernel
	.section	.text._ZL15unary_op_kernelIXadL_ZL6op_absfEE6__halfEvPKT0_PS1_i,"axG",@progbits,_ZL15unary_op_kernelIXadL_ZL6op_absfEE6__halfEvPKT0_PS1_i,comdat
.Lfunc_end0:
	.size	_ZL15unary_op_kernelIXadL_ZL6op_absfEE6__halfEvPKT0_PS1_i, .Lfunc_end0-_ZL15unary_op_kernelIXadL_ZL6op_absfEE6__halfEvPKT0_PS1_i
                                        ; -- End function
	.set _ZL15unary_op_kernelIXadL_ZL6op_absfEE6__halfEvPKT0_PS1_i.num_vgpr, 4
	.set _ZL15unary_op_kernelIXadL_ZL6op_absfEE6__halfEvPKT0_PS1_i.num_agpr, 0
	.set _ZL15unary_op_kernelIXadL_ZL6op_absfEE6__halfEvPKT0_PS1_i.numbered_sgpr, 7
	.set _ZL15unary_op_kernelIXadL_ZL6op_absfEE6__halfEvPKT0_PS1_i.num_named_barrier, 0
	.set _ZL15unary_op_kernelIXadL_ZL6op_absfEE6__halfEvPKT0_PS1_i.private_seg_size, 0
	.set _ZL15unary_op_kernelIXadL_ZL6op_absfEE6__halfEvPKT0_PS1_i.uses_vcc, 1
	.set _ZL15unary_op_kernelIXadL_ZL6op_absfEE6__halfEvPKT0_PS1_i.uses_flat_scratch, 0
	.set _ZL15unary_op_kernelIXadL_ZL6op_absfEE6__halfEvPKT0_PS1_i.has_dyn_sized_stack, 0
	.set _ZL15unary_op_kernelIXadL_ZL6op_absfEE6__halfEvPKT0_PS1_i.has_recursion, 0
	.set _ZL15unary_op_kernelIXadL_ZL6op_absfEE6__halfEvPKT0_PS1_i.has_indirect_call, 0
	.section	.AMDGPU.csdata,"",@progbits
; Kernel info:
; codeLenInByte = 128
; TotalNumSgprs: 11
; NumVgprs: 4
; ScratchSize: 0
; MemoryBound: 0
; FloatMode: 240
; IeeeMode: 1
; LDSByteSize: 0 bytes/workgroup (compile time only)
; SGPRBlocks: 1
; VGPRBlocks: 0
; NumSGPRsForWavesPerEU: 11
; NumVGPRsForWavesPerEU: 4
; Occupancy: 10
; WaveLimiterHint : 0
; COMPUTE_PGM_RSRC2:SCRATCH_EN: 0
; COMPUTE_PGM_RSRC2:USER_SGPR: 6
; COMPUTE_PGM_RSRC2:TRAP_HANDLER: 0
; COMPUTE_PGM_RSRC2:TGID_X_EN: 1
; COMPUTE_PGM_RSRC2:TGID_Y_EN: 0
; COMPUTE_PGM_RSRC2:TGID_Z_EN: 0
; COMPUTE_PGM_RSRC2:TIDIG_COMP_CNT: 0
	.section	.text._ZL15unary_op_kernelIXadL_ZL6op_absfEEfEvPKT0_PS0_i,"axG",@progbits,_ZL15unary_op_kernelIXadL_ZL6op_absfEEfEvPKT0_PS0_i,comdat
	.globl	_ZL15unary_op_kernelIXadL_ZL6op_absfEEfEvPKT0_PS0_i ; -- Begin function _ZL15unary_op_kernelIXadL_ZL6op_absfEEfEvPKT0_PS0_i
	.p2align	8
	.type	_ZL15unary_op_kernelIXadL_ZL6op_absfEEfEvPKT0_PS0_i,@function
_ZL15unary_op_kernelIXadL_ZL6op_absfEEfEvPKT0_PS0_i: ; @_ZL15unary_op_kernelIXadL_ZL6op_absfEEfEvPKT0_PS0_i
; %bb.0:
	s_load_dword s0, s[4:5], 0x24
	s_load_dword s1, s[4:5], 0x10
	s_waitcnt lgkmcnt(0)
	s_and_b32 s0, s0, 0xffff
	s_mul_i32 s6, s6, s0
	v_add_u32_e32 v0, s6, v0
	v_cmp_gt_i32_e32 vcc, s1, v0
	s_and_saveexec_b64 s[0:1], vcc
	s_cbranch_execz .LBB1_2
; %bb.1:
	s_load_dwordx4 s[0:3], s[4:5], 0x0
	v_ashrrev_i32_e32 v1, 31, v0
	v_lshlrev_b64 v[0:1], 2, v[0:1]
	s_waitcnt lgkmcnt(0)
	v_mov_b32_e32 v3, s1
	v_add_co_u32_e32 v2, vcc, s0, v0
	v_addc_co_u32_e32 v3, vcc, v3, v1, vcc
	global_load_dword v2, v[2:3], off
	v_mov_b32_e32 v3, s3
	v_add_co_u32_e32 v0, vcc, s2, v0
	v_addc_co_u32_e32 v1, vcc, v3, v1, vcc
	s_waitcnt vmcnt(0)
	v_and_b32_e32 v2, 0x7fffffff, v2
	global_store_dword v[0:1], v2, off
.LBB1_2:
	s_endpgm
	.section	.rodata,"a",@progbits
	.p2align	6, 0x0
	.amdhsa_kernel _ZL15unary_op_kernelIXadL_ZL6op_absfEEfEvPKT0_PS0_i
		.amdhsa_group_segment_fixed_size 0
		.amdhsa_private_segment_fixed_size 0
		.amdhsa_kernarg_size 280
		.amdhsa_user_sgpr_count 6
		.amdhsa_user_sgpr_private_segment_buffer 1
		.amdhsa_user_sgpr_dispatch_ptr 0
		.amdhsa_user_sgpr_queue_ptr 0
		.amdhsa_user_sgpr_kernarg_segment_ptr 1
		.amdhsa_user_sgpr_dispatch_id 0
		.amdhsa_user_sgpr_flat_scratch_init 0
		.amdhsa_user_sgpr_private_segment_size 0
		.amdhsa_uses_dynamic_stack 0
		.amdhsa_system_sgpr_private_segment_wavefront_offset 0
		.amdhsa_system_sgpr_workgroup_id_x 1
		.amdhsa_system_sgpr_workgroup_id_y 0
		.amdhsa_system_sgpr_workgroup_id_z 0
		.amdhsa_system_sgpr_workgroup_info 0
		.amdhsa_system_vgpr_workitem_id 0
		.amdhsa_next_free_vgpr 4
		.amdhsa_next_free_sgpr 7
		.amdhsa_reserve_vcc 1
		.amdhsa_reserve_flat_scratch 0
		.amdhsa_float_round_mode_32 0
		.amdhsa_float_round_mode_16_64 0
		.amdhsa_float_denorm_mode_32 3
		.amdhsa_float_denorm_mode_16_64 3
		.amdhsa_dx10_clamp 1
		.amdhsa_ieee_mode 1
		.amdhsa_fp16_overflow 0
		.amdhsa_exception_fp_ieee_invalid_op 0
		.amdhsa_exception_fp_denorm_src 0
		.amdhsa_exception_fp_ieee_div_zero 0
		.amdhsa_exception_fp_ieee_overflow 0
		.amdhsa_exception_fp_ieee_underflow 0
		.amdhsa_exception_fp_ieee_inexact 0
		.amdhsa_exception_int_div_zero 0
	.end_amdhsa_kernel
	.section	.text._ZL15unary_op_kernelIXadL_ZL6op_absfEEfEvPKT0_PS0_i,"axG",@progbits,_ZL15unary_op_kernelIXadL_ZL6op_absfEEfEvPKT0_PS0_i,comdat
.Lfunc_end1:
	.size	_ZL15unary_op_kernelIXadL_ZL6op_absfEEfEvPKT0_PS0_i, .Lfunc_end1-_ZL15unary_op_kernelIXadL_ZL6op_absfEEfEvPKT0_PS0_i
                                        ; -- End function
	.set _ZL15unary_op_kernelIXadL_ZL6op_absfEEfEvPKT0_PS0_i.num_vgpr, 4
	.set _ZL15unary_op_kernelIXadL_ZL6op_absfEEfEvPKT0_PS0_i.num_agpr, 0
	.set _ZL15unary_op_kernelIXadL_ZL6op_absfEEfEvPKT0_PS0_i.numbered_sgpr, 7
	.set _ZL15unary_op_kernelIXadL_ZL6op_absfEEfEvPKT0_PS0_i.num_named_barrier, 0
	.set _ZL15unary_op_kernelIXadL_ZL6op_absfEEfEvPKT0_PS0_i.private_seg_size, 0
	.set _ZL15unary_op_kernelIXadL_ZL6op_absfEEfEvPKT0_PS0_i.uses_vcc, 1
	.set _ZL15unary_op_kernelIXadL_ZL6op_absfEEfEvPKT0_PS0_i.uses_flat_scratch, 0
	.set _ZL15unary_op_kernelIXadL_ZL6op_absfEEfEvPKT0_PS0_i.has_dyn_sized_stack, 0
	.set _ZL15unary_op_kernelIXadL_ZL6op_absfEEfEvPKT0_PS0_i.has_recursion, 0
	.set _ZL15unary_op_kernelIXadL_ZL6op_absfEEfEvPKT0_PS0_i.has_indirect_call, 0
	.section	.AMDGPU.csdata,"",@progbits
; Kernel info:
; codeLenInByte = 128
; TotalNumSgprs: 11
; NumVgprs: 4
; ScratchSize: 0
; MemoryBound: 0
; FloatMode: 240
; IeeeMode: 1
; LDSByteSize: 0 bytes/workgroup (compile time only)
; SGPRBlocks: 1
; VGPRBlocks: 0
; NumSGPRsForWavesPerEU: 11
; NumVGPRsForWavesPerEU: 4
; Occupancy: 10
; WaveLimiterHint : 0
; COMPUTE_PGM_RSRC2:SCRATCH_EN: 0
; COMPUTE_PGM_RSRC2:USER_SGPR: 6
; COMPUTE_PGM_RSRC2:TRAP_HANDLER: 0
; COMPUTE_PGM_RSRC2:TGID_X_EN: 1
; COMPUTE_PGM_RSRC2:TGID_Y_EN: 0
; COMPUTE_PGM_RSRC2:TGID_Z_EN: 0
; COMPUTE_PGM_RSRC2:TIDIG_COMP_CNT: 0
	.section	.text._ZL15unary_op_kernelIXadL_ZL6op_sgnfEE6__halfEvPKT0_PS1_i,"axG",@progbits,_ZL15unary_op_kernelIXadL_ZL6op_sgnfEE6__halfEvPKT0_PS1_i,comdat
	.globl	_ZL15unary_op_kernelIXadL_ZL6op_sgnfEE6__halfEvPKT0_PS1_i ; -- Begin function _ZL15unary_op_kernelIXadL_ZL6op_sgnfEE6__halfEvPKT0_PS1_i
	.p2align	8
	.type	_ZL15unary_op_kernelIXadL_ZL6op_sgnfEE6__halfEvPKT0_PS1_i,@function
_ZL15unary_op_kernelIXadL_ZL6op_sgnfEE6__halfEvPKT0_PS1_i: ; @_ZL15unary_op_kernelIXadL_ZL6op_sgnfEE6__halfEvPKT0_PS1_i
; %bb.0:
	s_load_dword s0, s[4:5], 0x24
	s_load_dword s1, s[4:5], 0x10
	s_waitcnt lgkmcnt(0)
	s_and_b32 s0, s0, 0xffff
	s_mul_i32 s6, s6, s0
	v_add_u32_e32 v0, s6, v0
	v_cmp_gt_i32_e32 vcc, s1, v0
	s_and_saveexec_b64 s[0:1], vcc
	s_cbranch_execz .LBB2_2
; %bb.1:
	s_load_dwordx4 s[0:3], s[4:5], 0x0
	v_ashrrev_i32_e32 v1, 31, v0
	v_lshlrev_b64 v[0:1], 1, v[0:1]
	v_mov_b32_e32 v4, 0x3c00
	s_waitcnt lgkmcnt(0)
	v_mov_b32_e32 v3, s1
	v_add_co_u32_e32 v2, vcc, s0, v0
	v_addc_co_u32_e32 v3, vcc, v3, v1, vcc
	global_load_ushort v2, v[2:3], off
	v_mov_b32_e32 v3, 0xbc00
	v_mov_b32_e32 v5, s3
	s_waitcnt vmcnt(0)
	v_cmp_gt_f16_e32 vcc, 0, v2
	v_cndmask_b32_e32 v3, 0, v3, vcc
	v_cmp_nlt_f16_e32 vcc, 0, v2
	v_cndmask_b32_e32 v2, v4, v3, vcc
	v_add_co_u32_e32 v0, vcc, s2, v0
	v_addc_co_u32_e32 v1, vcc, v5, v1, vcc
	global_store_short v[0:1], v2, off
.LBB2_2:
	s_endpgm
	.section	.rodata,"a",@progbits
	.p2align	6, 0x0
	.amdhsa_kernel _ZL15unary_op_kernelIXadL_ZL6op_sgnfEE6__halfEvPKT0_PS1_i
		.amdhsa_group_segment_fixed_size 0
		.amdhsa_private_segment_fixed_size 0
		.amdhsa_kernarg_size 280
		.amdhsa_user_sgpr_count 6
		.amdhsa_user_sgpr_private_segment_buffer 1
		.amdhsa_user_sgpr_dispatch_ptr 0
		.amdhsa_user_sgpr_queue_ptr 0
		.amdhsa_user_sgpr_kernarg_segment_ptr 1
		.amdhsa_user_sgpr_dispatch_id 0
		.amdhsa_user_sgpr_flat_scratch_init 0
		.amdhsa_user_sgpr_private_segment_size 0
		.amdhsa_uses_dynamic_stack 0
		.amdhsa_system_sgpr_private_segment_wavefront_offset 0
		.amdhsa_system_sgpr_workgroup_id_x 1
		.amdhsa_system_sgpr_workgroup_id_y 0
		.amdhsa_system_sgpr_workgroup_id_z 0
		.amdhsa_system_sgpr_workgroup_info 0
		.amdhsa_system_vgpr_workitem_id 0
		.amdhsa_next_free_vgpr 6
		.amdhsa_next_free_sgpr 7
		.amdhsa_reserve_vcc 1
		.amdhsa_reserve_flat_scratch 0
		.amdhsa_float_round_mode_32 0
		.amdhsa_float_round_mode_16_64 0
		.amdhsa_float_denorm_mode_32 3
		.amdhsa_float_denorm_mode_16_64 3
		.amdhsa_dx10_clamp 1
		.amdhsa_ieee_mode 1
		.amdhsa_fp16_overflow 0
		.amdhsa_exception_fp_ieee_invalid_op 0
		.amdhsa_exception_fp_denorm_src 0
		.amdhsa_exception_fp_ieee_div_zero 0
		.amdhsa_exception_fp_ieee_overflow 0
		.amdhsa_exception_fp_ieee_underflow 0
		.amdhsa_exception_fp_ieee_inexact 0
		.amdhsa_exception_int_div_zero 0
	.end_amdhsa_kernel
	.section	.text._ZL15unary_op_kernelIXadL_ZL6op_sgnfEE6__halfEvPKT0_PS1_i,"axG",@progbits,_ZL15unary_op_kernelIXadL_ZL6op_sgnfEE6__halfEvPKT0_PS1_i,comdat
.Lfunc_end2:
	.size	_ZL15unary_op_kernelIXadL_ZL6op_sgnfEE6__halfEvPKT0_PS1_i, .Lfunc_end2-_ZL15unary_op_kernelIXadL_ZL6op_sgnfEE6__halfEvPKT0_PS1_i
                                        ; -- End function
	.set _ZL15unary_op_kernelIXadL_ZL6op_sgnfEE6__halfEvPKT0_PS1_i.num_vgpr, 6
	.set _ZL15unary_op_kernelIXadL_ZL6op_sgnfEE6__halfEvPKT0_PS1_i.num_agpr, 0
	.set _ZL15unary_op_kernelIXadL_ZL6op_sgnfEE6__halfEvPKT0_PS1_i.numbered_sgpr, 7
	.set _ZL15unary_op_kernelIXadL_ZL6op_sgnfEE6__halfEvPKT0_PS1_i.num_named_barrier, 0
	.set _ZL15unary_op_kernelIXadL_ZL6op_sgnfEE6__halfEvPKT0_PS1_i.private_seg_size, 0
	.set _ZL15unary_op_kernelIXadL_ZL6op_sgnfEE6__halfEvPKT0_PS1_i.uses_vcc, 1
	.set _ZL15unary_op_kernelIXadL_ZL6op_sgnfEE6__halfEvPKT0_PS1_i.uses_flat_scratch, 0
	.set _ZL15unary_op_kernelIXadL_ZL6op_sgnfEE6__halfEvPKT0_PS1_i.has_dyn_sized_stack, 0
	.set _ZL15unary_op_kernelIXadL_ZL6op_sgnfEE6__halfEvPKT0_PS1_i.has_recursion, 0
	.set _ZL15unary_op_kernelIXadL_ZL6op_sgnfEE6__halfEvPKT0_PS1_i.has_indirect_call, 0
	.section	.AMDGPU.csdata,"",@progbits
; Kernel info:
; codeLenInByte = 152
; TotalNumSgprs: 11
; NumVgprs: 6
; ScratchSize: 0
; MemoryBound: 0
; FloatMode: 240
; IeeeMode: 1
; LDSByteSize: 0 bytes/workgroup (compile time only)
; SGPRBlocks: 1
; VGPRBlocks: 1
; NumSGPRsForWavesPerEU: 11
; NumVGPRsForWavesPerEU: 6
; Occupancy: 10
; WaveLimiterHint : 0
; COMPUTE_PGM_RSRC2:SCRATCH_EN: 0
; COMPUTE_PGM_RSRC2:USER_SGPR: 6
; COMPUTE_PGM_RSRC2:TRAP_HANDLER: 0
; COMPUTE_PGM_RSRC2:TGID_X_EN: 1
; COMPUTE_PGM_RSRC2:TGID_Y_EN: 0
; COMPUTE_PGM_RSRC2:TGID_Z_EN: 0
; COMPUTE_PGM_RSRC2:TIDIG_COMP_CNT: 0
	.section	.text._ZL15unary_op_kernelIXadL_ZL6op_sgnfEEfEvPKT0_PS0_i,"axG",@progbits,_ZL15unary_op_kernelIXadL_ZL6op_sgnfEEfEvPKT0_PS0_i,comdat
	.globl	_ZL15unary_op_kernelIXadL_ZL6op_sgnfEEfEvPKT0_PS0_i ; -- Begin function _ZL15unary_op_kernelIXadL_ZL6op_sgnfEEfEvPKT0_PS0_i
	.p2align	8
	.type	_ZL15unary_op_kernelIXadL_ZL6op_sgnfEEfEvPKT0_PS0_i,@function
_ZL15unary_op_kernelIXadL_ZL6op_sgnfEEfEvPKT0_PS0_i: ; @_ZL15unary_op_kernelIXadL_ZL6op_sgnfEEfEvPKT0_PS0_i
; %bb.0:
	s_load_dword s0, s[4:5], 0x24
	s_load_dword s1, s[4:5], 0x10
	s_waitcnt lgkmcnt(0)
	s_and_b32 s0, s0, 0xffff
	s_mul_i32 s6, s6, s0
	v_add_u32_e32 v0, s6, v0
	v_cmp_gt_i32_e32 vcc, s1, v0
	s_and_saveexec_b64 s[0:1], vcc
	s_cbranch_execz .LBB3_2
; %bb.1:
	s_load_dwordx4 s[0:3], s[4:5], 0x0
	v_ashrrev_i32_e32 v1, 31, v0
	v_lshlrev_b64 v[0:1], 2, v[0:1]
	s_waitcnt lgkmcnt(0)
	v_mov_b32_e32 v3, s1
	v_add_co_u32_e32 v2, vcc, s0, v0
	v_addc_co_u32_e32 v3, vcc, v3, v1, vcc
	global_load_dword v2, v[2:3], off
	v_mov_b32_e32 v3, s3
	s_waitcnt vmcnt(0)
	v_cmp_gt_f32_e32 vcc, 0, v2
	v_cndmask_b32_e64 v4, 0, -1.0, vcc
	v_cmp_nlt_f32_e32 vcc, 0, v2
	v_cndmask_b32_e32 v2, 1.0, v4, vcc
	v_add_co_u32_e32 v0, vcc, s2, v0
	v_addc_co_u32_e32 v1, vcc, v3, v1, vcc
	global_store_dword v[0:1], v2, off
.LBB3_2:
	s_endpgm
	.section	.rodata,"a",@progbits
	.p2align	6, 0x0
	.amdhsa_kernel _ZL15unary_op_kernelIXadL_ZL6op_sgnfEEfEvPKT0_PS0_i
		.amdhsa_group_segment_fixed_size 0
		.amdhsa_private_segment_fixed_size 0
		.amdhsa_kernarg_size 280
		.amdhsa_user_sgpr_count 6
		.amdhsa_user_sgpr_private_segment_buffer 1
		.amdhsa_user_sgpr_dispatch_ptr 0
		.amdhsa_user_sgpr_queue_ptr 0
		.amdhsa_user_sgpr_kernarg_segment_ptr 1
		.amdhsa_user_sgpr_dispatch_id 0
		.amdhsa_user_sgpr_flat_scratch_init 0
		.amdhsa_user_sgpr_private_segment_size 0
		.amdhsa_uses_dynamic_stack 0
		.amdhsa_system_sgpr_private_segment_wavefront_offset 0
		.amdhsa_system_sgpr_workgroup_id_x 1
		.amdhsa_system_sgpr_workgroup_id_y 0
		.amdhsa_system_sgpr_workgroup_id_z 0
		.amdhsa_system_sgpr_workgroup_info 0
		.amdhsa_system_vgpr_workitem_id 0
		.amdhsa_next_free_vgpr 5
		.amdhsa_next_free_sgpr 7
		.amdhsa_reserve_vcc 1
		.amdhsa_reserve_flat_scratch 0
		.amdhsa_float_round_mode_32 0
		.amdhsa_float_round_mode_16_64 0
		.amdhsa_float_denorm_mode_32 3
		.amdhsa_float_denorm_mode_16_64 3
		.amdhsa_dx10_clamp 1
		.amdhsa_ieee_mode 1
		.amdhsa_fp16_overflow 0
		.amdhsa_exception_fp_ieee_invalid_op 0
		.amdhsa_exception_fp_denorm_src 0
		.amdhsa_exception_fp_ieee_div_zero 0
		.amdhsa_exception_fp_ieee_overflow 0
		.amdhsa_exception_fp_ieee_underflow 0
		.amdhsa_exception_fp_ieee_inexact 0
		.amdhsa_exception_int_div_zero 0
	.end_amdhsa_kernel
	.section	.text._ZL15unary_op_kernelIXadL_ZL6op_sgnfEEfEvPKT0_PS0_i,"axG",@progbits,_ZL15unary_op_kernelIXadL_ZL6op_sgnfEEfEvPKT0_PS0_i,comdat
.Lfunc_end3:
	.size	_ZL15unary_op_kernelIXadL_ZL6op_sgnfEEfEvPKT0_PS0_i, .Lfunc_end3-_ZL15unary_op_kernelIXadL_ZL6op_sgnfEEfEvPKT0_PS0_i
                                        ; -- End function
	.set _ZL15unary_op_kernelIXadL_ZL6op_sgnfEEfEvPKT0_PS0_i.num_vgpr, 5
	.set _ZL15unary_op_kernelIXadL_ZL6op_sgnfEEfEvPKT0_PS0_i.num_agpr, 0
	.set _ZL15unary_op_kernelIXadL_ZL6op_sgnfEEfEvPKT0_PS0_i.numbered_sgpr, 7
	.set _ZL15unary_op_kernelIXadL_ZL6op_sgnfEEfEvPKT0_PS0_i.num_named_barrier, 0
	.set _ZL15unary_op_kernelIXadL_ZL6op_sgnfEEfEvPKT0_PS0_i.private_seg_size, 0
	.set _ZL15unary_op_kernelIXadL_ZL6op_sgnfEEfEvPKT0_PS0_i.uses_vcc, 1
	.set _ZL15unary_op_kernelIXadL_ZL6op_sgnfEEfEvPKT0_PS0_i.uses_flat_scratch, 0
	.set _ZL15unary_op_kernelIXadL_ZL6op_sgnfEEfEvPKT0_PS0_i.has_dyn_sized_stack, 0
	.set _ZL15unary_op_kernelIXadL_ZL6op_sgnfEEfEvPKT0_PS0_i.has_recursion, 0
	.set _ZL15unary_op_kernelIXadL_ZL6op_sgnfEEfEvPKT0_PS0_i.has_indirect_call, 0
	.section	.AMDGPU.csdata,"",@progbits
; Kernel info:
; codeLenInByte = 140
; TotalNumSgprs: 11
; NumVgprs: 5
; ScratchSize: 0
; MemoryBound: 0
; FloatMode: 240
; IeeeMode: 1
; LDSByteSize: 0 bytes/workgroup (compile time only)
; SGPRBlocks: 1
; VGPRBlocks: 1
; NumSGPRsForWavesPerEU: 11
; NumVGPRsForWavesPerEU: 5
; Occupancy: 10
; WaveLimiterHint : 0
; COMPUTE_PGM_RSRC2:SCRATCH_EN: 0
; COMPUTE_PGM_RSRC2:USER_SGPR: 6
; COMPUTE_PGM_RSRC2:TRAP_HANDLER: 0
; COMPUTE_PGM_RSRC2:TGID_X_EN: 1
; COMPUTE_PGM_RSRC2:TGID_Y_EN: 0
; COMPUTE_PGM_RSRC2:TGID_Z_EN: 0
; COMPUTE_PGM_RSRC2:TIDIG_COMP_CNT: 0
	.section	.text._ZL15unary_op_kernelIXadL_ZL6op_negfEE6__halfEvPKT0_PS1_i,"axG",@progbits,_ZL15unary_op_kernelIXadL_ZL6op_negfEE6__halfEvPKT0_PS1_i,comdat
	.globl	_ZL15unary_op_kernelIXadL_ZL6op_negfEE6__halfEvPKT0_PS1_i ; -- Begin function _ZL15unary_op_kernelIXadL_ZL6op_negfEE6__halfEvPKT0_PS1_i
	.p2align	8
	.type	_ZL15unary_op_kernelIXadL_ZL6op_negfEE6__halfEvPKT0_PS1_i,@function
_ZL15unary_op_kernelIXadL_ZL6op_negfEE6__halfEvPKT0_PS1_i: ; @_ZL15unary_op_kernelIXadL_ZL6op_negfEE6__halfEvPKT0_PS1_i
; %bb.0:
	s_load_dword s0, s[4:5], 0x24
	s_load_dword s1, s[4:5], 0x10
	s_waitcnt lgkmcnt(0)
	s_and_b32 s0, s0, 0xffff
	s_mul_i32 s6, s6, s0
	v_add_u32_e32 v0, s6, v0
	v_cmp_gt_i32_e32 vcc, s1, v0
	s_and_saveexec_b64 s[0:1], vcc
	s_cbranch_execz .LBB4_2
; %bb.1:
	s_load_dwordx4 s[0:3], s[4:5], 0x0
	v_ashrrev_i32_e32 v1, 31, v0
	v_lshlrev_b64 v[0:1], 1, v[0:1]
	s_waitcnt lgkmcnt(0)
	v_mov_b32_e32 v3, s1
	v_add_co_u32_e32 v2, vcc, s0, v0
	v_addc_co_u32_e32 v3, vcc, v3, v1, vcc
	global_load_ushort v2, v[2:3], off
	v_mov_b32_e32 v3, s3
	v_add_co_u32_e32 v0, vcc, s2, v0
	v_addc_co_u32_e32 v1, vcc, v3, v1, vcc
	s_waitcnt vmcnt(0)
	v_xor_b32_e32 v2, 0x8000, v2
	global_store_short v[0:1], v2, off
.LBB4_2:
	s_endpgm
	.section	.rodata,"a",@progbits
	.p2align	6, 0x0
	.amdhsa_kernel _ZL15unary_op_kernelIXadL_ZL6op_negfEE6__halfEvPKT0_PS1_i
		.amdhsa_group_segment_fixed_size 0
		.amdhsa_private_segment_fixed_size 0
		.amdhsa_kernarg_size 280
		.amdhsa_user_sgpr_count 6
		.amdhsa_user_sgpr_private_segment_buffer 1
		.amdhsa_user_sgpr_dispatch_ptr 0
		.amdhsa_user_sgpr_queue_ptr 0
		.amdhsa_user_sgpr_kernarg_segment_ptr 1
		.amdhsa_user_sgpr_dispatch_id 0
		.amdhsa_user_sgpr_flat_scratch_init 0
		.amdhsa_user_sgpr_private_segment_size 0
		.amdhsa_uses_dynamic_stack 0
		.amdhsa_system_sgpr_private_segment_wavefront_offset 0
		.amdhsa_system_sgpr_workgroup_id_x 1
		.amdhsa_system_sgpr_workgroup_id_y 0
		.amdhsa_system_sgpr_workgroup_id_z 0
		.amdhsa_system_sgpr_workgroup_info 0
		.amdhsa_system_vgpr_workitem_id 0
		.amdhsa_next_free_vgpr 4
		.amdhsa_next_free_sgpr 7
		.amdhsa_reserve_vcc 1
		.amdhsa_reserve_flat_scratch 0
		.amdhsa_float_round_mode_32 0
		.amdhsa_float_round_mode_16_64 0
		.amdhsa_float_denorm_mode_32 3
		.amdhsa_float_denorm_mode_16_64 3
		.amdhsa_dx10_clamp 1
		.amdhsa_ieee_mode 1
		.amdhsa_fp16_overflow 0
		.amdhsa_exception_fp_ieee_invalid_op 0
		.amdhsa_exception_fp_denorm_src 0
		.amdhsa_exception_fp_ieee_div_zero 0
		.amdhsa_exception_fp_ieee_overflow 0
		.amdhsa_exception_fp_ieee_underflow 0
		.amdhsa_exception_fp_ieee_inexact 0
		.amdhsa_exception_int_div_zero 0
	.end_amdhsa_kernel
	.section	.text._ZL15unary_op_kernelIXadL_ZL6op_negfEE6__halfEvPKT0_PS1_i,"axG",@progbits,_ZL15unary_op_kernelIXadL_ZL6op_negfEE6__halfEvPKT0_PS1_i,comdat
.Lfunc_end4:
	.size	_ZL15unary_op_kernelIXadL_ZL6op_negfEE6__halfEvPKT0_PS1_i, .Lfunc_end4-_ZL15unary_op_kernelIXadL_ZL6op_negfEE6__halfEvPKT0_PS1_i
                                        ; -- End function
	.set _ZL15unary_op_kernelIXadL_ZL6op_negfEE6__halfEvPKT0_PS1_i.num_vgpr, 4
	.set _ZL15unary_op_kernelIXadL_ZL6op_negfEE6__halfEvPKT0_PS1_i.num_agpr, 0
	.set _ZL15unary_op_kernelIXadL_ZL6op_negfEE6__halfEvPKT0_PS1_i.numbered_sgpr, 7
	.set _ZL15unary_op_kernelIXadL_ZL6op_negfEE6__halfEvPKT0_PS1_i.num_named_barrier, 0
	.set _ZL15unary_op_kernelIXadL_ZL6op_negfEE6__halfEvPKT0_PS1_i.private_seg_size, 0
	.set _ZL15unary_op_kernelIXadL_ZL6op_negfEE6__halfEvPKT0_PS1_i.uses_vcc, 1
	.set _ZL15unary_op_kernelIXadL_ZL6op_negfEE6__halfEvPKT0_PS1_i.uses_flat_scratch, 0
	.set _ZL15unary_op_kernelIXadL_ZL6op_negfEE6__halfEvPKT0_PS1_i.has_dyn_sized_stack, 0
	.set _ZL15unary_op_kernelIXadL_ZL6op_negfEE6__halfEvPKT0_PS1_i.has_recursion, 0
	.set _ZL15unary_op_kernelIXadL_ZL6op_negfEE6__halfEvPKT0_PS1_i.has_indirect_call, 0
	.section	.AMDGPU.csdata,"",@progbits
; Kernel info:
; codeLenInByte = 128
; TotalNumSgprs: 11
; NumVgprs: 4
; ScratchSize: 0
; MemoryBound: 0
; FloatMode: 240
; IeeeMode: 1
; LDSByteSize: 0 bytes/workgroup (compile time only)
; SGPRBlocks: 1
; VGPRBlocks: 0
; NumSGPRsForWavesPerEU: 11
; NumVGPRsForWavesPerEU: 4
; Occupancy: 10
; WaveLimiterHint : 0
; COMPUTE_PGM_RSRC2:SCRATCH_EN: 0
; COMPUTE_PGM_RSRC2:USER_SGPR: 6
; COMPUTE_PGM_RSRC2:TRAP_HANDLER: 0
; COMPUTE_PGM_RSRC2:TGID_X_EN: 1
; COMPUTE_PGM_RSRC2:TGID_Y_EN: 0
; COMPUTE_PGM_RSRC2:TGID_Z_EN: 0
; COMPUTE_PGM_RSRC2:TIDIG_COMP_CNT: 0
	.section	.text._ZL15unary_op_kernelIXadL_ZL6op_negfEEfEvPKT0_PS0_i,"axG",@progbits,_ZL15unary_op_kernelIXadL_ZL6op_negfEEfEvPKT0_PS0_i,comdat
	.globl	_ZL15unary_op_kernelIXadL_ZL6op_negfEEfEvPKT0_PS0_i ; -- Begin function _ZL15unary_op_kernelIXadL_ZL6op_negfEEfEvPKT0_PS0_i
	.p2align	8
	.type	_ZL15unary_op_kernelIXadL_ZL6op_negfEEfEvPKT0_PS0_i,@function
_ZL15unary_op_kernelIXadL_ZL6op_negfEEfEvPKT0_PS0_i: ; @_ZL15unary_op_kernelIXadL_ZL6op_negfEEfEvPKT0_PS0_i
; %bb.0:
	s_load_dword s0, s[4:5], 0x24
	s_load_dword s1, s[4:5], 0x10
	s_waitcnt lgkmcnt(0)
	s_and_b32 s0, s0, 0xffff
	s_mul_i32 s6, s6, s0
	v_add_u32_e32 v0, s6, v0
	v_cmp_gt_i32_e32 vcc, s1, v0
	s_and_saveexec_b64 s[0:1], vcc
	s_cbranch_execz .LBB5_2
; %bb.1:
	s_load_dwordx4 s[0:3], s[4:5], 0x0
	v_ashrrev_i32_e32 v1, 31, v0
	v_lshlrev_b64 v[0:1], 2, v[0:1]
	s_waitcnt lgkmcnt(0)
	v_mov_b32_e32 v3, s1
	v_add_co_u32_e32 v2, vcc, s0, v0
	v_addc_co_u32_e32 v3, vcc, v3, v1, vcc
	global_load_dword v2, v[2:3], off
	v_mov_b32_e32 v3, s3
	v_add_co_u32_e32 v0, vcc, s2, v0
	v_addc_co_u32_e32 v1, vcc, v3, v1, vcc
	s_waitcnt vmcnt(0)
	v_xor_b32_e32 v2, 0x80000000, v2
	global_store_dword v[0:1], v2, off
.LBB5_2:
	s_endpgm
	.section	.rodata,"a",@progbits
	.p2align	6, 0x0
	.amdhsa_kernel _ZL15unary_op_kernelIXadL_ZL6op_negfEEfEvPKT0_PS0_i
		.amdhsa_group_segment_fixed_size 0
		.amdhsa_private_segment_fixed_size 0
		.amdhsa_kernarg_size 280
		.amdhsa_user_sgpr_count 6
		.amdhsa_user_sgpr_private_segment_buffer 1
		.amdhsa_user_sgpr_dispatch_ptr 0
		.amdhsa_user_sgpr_queue_ptr 0
		.amdhsa_user_sgpr_kernarg_segment_ptr 1
		.amdhsa_user_sgpr_dispatch_id 0
		.amdhsa_user_sgpr_flat_scratch_init 0
		.amdhsa_user_sgpr_private_segment_size 0
		.amdhsa_uses_dynamic_stack 0
		.amdhsa_system_sgpr_private_segment_wavefront_offset 0
		.amdhsa_system_sgpr_workgroup_id_x 1
		.amdhsa_system_sgpr_workgroup_id_y 0
		.amdhsa_system_sgpr_workgroup_id_z 0
		.amdhsa_system_sgpr_workgroup_info 0
		.amdhsa_system_vgpr_workitem_id 0
		.amdhsa_next_free_vgpr 4
		.amdhsa_next_free_sgpr 7
		.amdhsa_reserve_vcc 1
		.amdhsa_reserve_flat_scratch 0
		.amdhsa_float_round_mode_32 0
		.amdhsa_float_round_mode_16_64 0
		.amdhsa_float_denorm_mode_32 3
		.amdhsa_float_denorm_mode_16_64 3
		.amdhsa_dx10_clamp 1
		.amdhsa_ieee_mode 1
		.amdhsa_fp16_overflow 0
		.amdhsa_exception_fp_ieee_invalid_op 0
		.amdhsa_exception_fp_denorm_src 0
		.amdhsa_exception_fp_ieee_div_zero 0
		.amdhsa_exception_fp_ieee_overflow 0
		.amdhsa_exception_fp_ieee_underflow 0
		.amdhsa_exception_fp_ieee_inexact 0
		.amdhsa_exception_int_div_zero 0
	.end_amdhsa_kernel
	.section	.text._ZL15unary_op_kernelIXadL_ZL6op_negfEEfEvPKT0_PS0_i,"axG",@progbits,_ZL15unary_op_kernelIXadL_ZL6op_negfEEfEvPKT0_PS0_i,comdat
.Lfunc_end5:
	.size	_ZL15unary_op_kernelIXadL_ZL6op_negfEEfEvPKT0_PS0_i, .Lfunc_end5-_ZL15unary_op_kernelIXadL_ZL6op_negfEEfEvPKT0_PS0_i
                                        ; -- End function
	.set _ZL15unary_op_kernelIXadL_ZL6op_negfEEfEvPKT0_PS0_i.num_vgpr, 4
	.set _ZL15unary_op_kernelIXadL_ZL6op_negfEEfEvPKT0_PS0_i.num_agpr, 0
	.set _ZL15unary_op_kernelIXadL_ZL6op_negfEEfEvPKT0_PS0_i.numbered_sgpr, 7
	.set _ZL15unary_op_kernelIXadL_ZL6op_negfEEfEvPKT0_PS0_i.num_named_barrier, 0
	.set _ZL15unary_op_kernelIXadL_ZL6op_negfEEfEvPKT0_PS0_i.private_seg_size, 0
	.set _ZL15unary_op_kernelIXadL_ZL6op_negfEEfEvPKT0_PS0_i.uses_vcc, 1
	.set _ZL15unary_op_kernelIXadL_ZL6op_negfEEfEvPKT0_PS0_i.uses_flat_scratch, 0
	.set _ZL15unary_op_kernelIXadL_ZL6op_negfEEfEvPKT0_PS0_i.has_dyn_sized_stack, 0
	.set _ZL15unary_op_kernelIXadL_ZL6op_negfEEfEvPKT0_PS0_i.has_recursion, 0
	.set _ZL15unary_op_kernelIXadL_ZL6op_negfEEfEvPKT0_PS0_i.has_indirect_call, 0
	.section	.AMDGPU.csdata,"",@progbits
; Kernel info:
; codeLenInByte = 128
; TotalNumSgprs: 11
; NumVgprs: 4
; ScratchSize: 0
; MemoryBound: 0
; FloatMode: 240
; IeeeMode: 1
; LDSByteSize: 0 bytes/workgroup (compile time only)
; SGPRBlocks: 1
; VGPRBlocks: 0
; NumSGPRsForWavesPerEU: 11
; NumVGPRsForWavesPerEU: 4
; Occupancy: 10
; WaveLimiterHint : 0
; COMPUTE_PGM_RSRC2:SCRATCH_EN: 0
; COMPUTE_PGM_RSRC2:USER_SGPR: 6
; COMPUTE_PGM_RSRC2:TRAP_HANDLER: 0
; COMPUTE_PGM_RSRC2:TGID_X_EN: 1
; COMPUTE_PGM_RSRC2:TGID_Y_EN: 0
; COMPUTE_PGM_RSRC2:TGID_Z_EN: 0
; COMPUTE_PGM_RSRC2:TIDIG_COMP_CNT: 0
	.section	.text._ZL15unary_op_kernelIXadL_ZL7op_stepfEE6__halfEvPKT0_PS1_i,"axG",@progbits,_ZL15unary_op_kernelIXadL_ZL7op_stepfEE6__halfEvPKT0_PS1_i,comdat
	.globl	_ZL15unary_op_kernelIXadL_ZL7op_stepfEE6__halfEvPKT0_PS1_i ; -- Begin function _ZL15unary_op_kernelIXadL_ZL7op_stepfEE6__halfEvPKT0_PS1_i
	.p2align	8
	.type	_ZL15unary_op_kernelIXadL_ZL7op_stepfEE6__halfEvPKT0_PS1_i,@function
_ZL15unary_op_kernelIXadL_ZL7op_stepfEE6__halfEvPKT0_PS1_i: ; @_ZL15unary_op_kernelIXadL_ZL7op_stepfEE6__halfEvPKT0_PS1_i
; %bb.0:
	s_load_dword s0, s[4:5], 0x24
	s_load_dword s1, s[4:5], 0x10
	s_waitcnt lgkmcnt(0)
	s_and_b32 s0, s0, 0xffff
	s_mul_i32 s6, s6, s0
	v_add_u32_e32 v0, s6, v0
	v_cmp_gt_i32_e32 vcc, s1, v0
	s_and_saveexec_b64 s[0:1], vcc
	s_cbranch_execz .LBB6_2
; %bb.1:
	s_load_dwordx4 s[0:3], s[4:5], 0x0
	v_ashrrev_i32_e32 v1, 31, v0
	v_lshlrev_b64 v[0:1], 1, v[0:1]
	s_waitcnt lgkmcnt(0)
	v_mov_b32_e32 v3, s1
	v_add_co_u32_e32 v2, vcc, s0, v0
	v_addc_co_u32_e32 v3, vcc, v3, v1, vcc
	global_load_ushort v2, v[2:3], off
	v_mov_b32_e32 v3, 0x3c00
	v_mov_b32_e32 v4, s3
	s_waitcnt vmcnt(0)
	v_cmp_lt_f16_e32 vcc, 0, v2
	v_cndmask_b32_e32 v2, 0, v3, vcc
	v_add_co_u32_e32 v0, vcc, s2, v0
	v_addc_co_u32_e32 v1, vcc, v4, v1, vcc
	global_store_short v[0:1], v2, off
.LBB6_2:
	s_endpgm
	.section	.rodata,"a",@progbits
	.p2align	6, 0x0
	.amdhsa_kernel _ZL15unary_op_kernelIXadL_ZL7op_stepfEE6__halfEvPKT0_PS1_i
		.amdhsa_group_segment_fixed_size 0
		.amdhsa_private_segment_fixed_size 0
		.amdhsa_kernarg_size 280
		.amdhsa_user_sgpr_count 6
		.amdhsa_user_sgpr_private_segment_buffer 1
		.amdhsa_user_sgpr_dispatch_ptr 0
		.amdhsa_user_sgpr_queue_ptr 0
		.amdhsa_user_sgpr_kernarg_segment_ptr 1
		.amdhsa_user_sgpr_dispatch_id 0
		.amdhsa_user_sgpr_flat_scratch_init 0
		.amdhsa_user_sgpr_private_segment_size 0
		.amdhsa_uses_dynamic_stack 0
		.amdhsa_system_sgpr_private_segment_wavefront_offset 0
		.amdhsa_system_sgpr_workgroup_id_x 1
		.amdhsa_system_sgpr_workgroup_id_y 0
		.amdhsa_system_sgpr_workgroup_id_z 0
		.amdhsa_system_sgpr_workgroup_info 0
		.amdhsa_system_vgpr_workitem_id 0
		.amdhsa_next_free_vgpr 5
		.amdhsa_next_free_sgpr 7
		.amdhsa_reserve_vcc 1
		.amdhsa_reserve_flat_scratch 0
		.amdhsa_float_round_mode_32 0
		.amdhsa_float_round_mode_16_64 0
		.amdhsa_float_denorm_mode_32 3
		.amdhsa_float_denorm_mode_16_64 3
		.amdhsa_dx10_clamp 1
		.amdhsa_ieee_mode 1
		.amdhsa_fp16_overflow 0
		.amdhsa_exception_fp_ieee_invalid_op 0
		.amdhsa_exception_fp_denorm_src 0
		.amdhsa_exception_fp_ieee_div_zero 0
		.amdhsa_exception_fp_ieee_overflow 0
		.amdhsa_exception_fp_ieee_underflow 0
		.amdhsa_exception_fp_ieee_inexact 0
		.amdhsa_exception_int_div_zero 0
	.end_amdhsa_kernel
	.section	.text._ZL15unary_op_kernelIXadL_ZL7op_stepfEE6__halfEvPKT0_PS1_i,"axG",@progbits,_ZL15unary_op_kernelIXadL_ZL7op_stepfEE6__halfEvPKT0_PS1_i,comdat
.Lfunc_end6:
	.size	_ZL15unary_op_kernelIXadL_ZL7op_stepfEE6__halfEvPKT0_PS1_i, .Lfunc_end6-_ZL15unary_op_kernelIXadL_ZL7op_stepfEE6__halfEvPKT0_PS1_i
                                        ; -- End function
	.set _ZL15unary_op_kernelIXadL_ZL7op_stepfEE6__halfEvPKT0_PS1_i.num_vgpr, 5
	.set _ZL15unary_op_kernelIXadL_ZL7op_stepfEE6__halfEvPKT0_PS1_i.num_agpr, 0
	.set _ZL15unary_op_kernelIXadL_ZL7op_stepfEE6__halfEvPKT0_PS1_i.numbered_sgpr, 7
	.set _ZL15unary_op_kernelIXadL_ZL7op_stepfEE6__halfEvPKT0_PS1_i.num_named_barrier, 0
	.set _ZL15unary_op_kernelIXadL_ZL7op_stepfEE6__halfEvPKT0_PS1_i.private_seg_size, 0
	.set _ZL15unary_op_kernelIXadL_ZL7op_stepfEE6__halfEvPKT0_PS1_i.uses_vcc, 1
	.set _ZL15unary_op_kernelIXadL_ZL7op_stepfEE6__halfEvPKT0_PS1_i.uses_flat_scratch, 0
	.set _ZL15unary_op_kernelIXadL_ZL7op_stepfEE6__halfEvPKT0_PS1_i.has_dyn_sized_stack, 0
	.set _ZL15unary_op_kernelIXadL_ZL7op_stepfEE6__halfEvPKT0_PS1_i.has_recursion, 0
	.set _ZL15unary_op_kernelIXadL_ZL7op_stepfEE6__halfEvPKT0_PS1_i.has_indirect_call, 0
	.section	.AMDGPU.csdata,"",@progbits
; Kernel info:
; codeLenInByte = 136
; TotalNumSgprs: 11
; NumVgprs: 5
; ScratchSize: 0
; MemoryBound: 0
; FloatMode: 240
; IeeeMode: 1
; LDSByteSize: 0 bytes/workgroup (compile time only)
; SGPRBlocks: 1
; VGPRBlocks: 1
; NumSGPRsForWavesPerEU: 11
; NumVGPRsForWavesPerEU: 5
; Occupancy: 10
; WaveLimiterHint : 0
; COMPUTE_PGM_RSRC2:SCRATCH_EN: 0
; COMPUTE_PGM_RSRC2:USER_SGPR: 6
; COMPUTE_PGM_RSRC2:TRAP_HANDLER: 0
; COMPUTE_PGM_RSRC2:TGID_X_EN: 1
; COMPUTE_PGM_RSRC2:TGID_Y_EN: 0
; COMPUTE_PGM_RSRC2:TGID_Z_EN: 0
; COMPUTE_PGM_RSRC2:TIDIG_COMP_CNT: 0
	.section	.text._ZL15unary_op_kernelIXadL_ZL7op_stepfEEfEvPKT0_PS0_i,"axG",@progbits,_ZL15unary_op_kernelIXadL_ZL7op_stepfEEfEvPKT0_PS0_i,comdat
	.globl	_ZL15unary_op_kernelIXadL_ZL7op_stepfEEfEvPKT0_PS0_i ; -- Begin function _ZL15unary_op_kernelIXadL_ZL7op_stepfEEfEvPKT0_PS0_i
	.p2align	8
	.type	_ZL15unary_op_kernelIXadL_ZL7op_stepfEEfEvPKT0_PS0_i,@function
_ZL15unary_op_kernelIXadL_ZL7op_stepfEEfEvPKT0_PS0_i: ; @_ZL15unary_op_kernelIXadL_ZL7op_stepfEEfEvPKT0_PS0_i
; %bb.0:
	s_load_dword s0, s[4:5], 0x24
	s_load_dword s1, s[4:5], 0x10
	s_waitcnt lgkmcnt(0)
	s_and_b32 s0, s0, 0xffff
	s_mul_i32 s6, s6, s0
	v_add_u32_e32 v0, s6, v0
	v_cmp_gt_i32_e32 vcc, s1, v0
	s_and_saveexec_b64 s[0:1], vcc
	s_cbranch_execz .LBB7_2
; %bb.1:
	s_load_dwordx4 s[0:3], s[4:5], 0x0
	v_ashrrev_i32_e32 v1, 31, v0
	v_lshlrev_b64 v[0:1], 2, v[0:1]
	s_waitcnt lgkmcnt(0)
	v_mov_b32_e32 v3, s1
	v_add_co_u32_e32 v2, vcc, s0, v0
	v_addc_co_u32_e32 v3, vcc, v3, v1, vcc
	global_load_dword v2, v[2:3], off
	v_mov_b32_e32 v3, s3
	v_add_co_u32_e32 v0, vcc, s2, v0
	v_addc_co_u32_e32 v1, vcc, v3, v1, vcc
	s_waitcnt vmcnt(0)
	v_cmp_lt_f32_e32 vcc, 0, v2
	v_cndmask_b32_e64 v2, 0, 1.0, vcc
	global_store_dword v[0:1], v2, off
.LBB7_2:
	s_endpgm
	.section	.rodata,"a",@progbits
	.p2align	6, 0x0
	.amdhsa_kernel _ZL15unary_op_kernelIXadL_ZL7op_stepfEEfEvPKT0_PS0_i
		.amdhsa_group_segment_fixed_size 0
		.amdhsa_private_segment_fixed_size 0
		.amdhsa_kernarg_size 280
		.amdhsa_user_sgpr_count 6
		.amdhsa_user_sgpr_private_segment_buffer 1
		.amdhsa_user_sgpr_dispatch_ptr 0
		.amdhsa_user_sgpr_queue_ptr 0
		.amdhsa_user_sgpr_kernarg_segment_ptr 1
		.amdhsa_user_sgpr_dispatch_id 0
		.amdhsa_user_sgpr_flat_scratch_init 0
		.amdhsa_user_sgpr_private_segment_size 0
		.amdhsa_uses_dynamic_stack 0
		.amdhsa_system_sgpr_private_segment_wavefront_offset 0
		.amdhsa_system_sgpr_workgroup_id_x 1
		.amdhsa_system_sgpr_workgroup_id_y 0
		.amdhsa_system_sgpr_workgroup_id_z 0
		.amdhsa_system_sgpr_workgroup_info 0
		.amdhsa_system_vgpr_workitem_id 0
		.amdhsa_next_free_vgpr 4
		.amdhsa_next_free_sgpr 7
		.amdhsa_reserve_vcc 1
		.amdhsa_reserve_flat_scratch 0
		.amdhsa_float_round_mode_32 0
		.amdhsa_float_round_mode_16_64 0
		.amdhsa_float_denorm_mode_32 3
		.amdhsa_float_denorm_mode_16_64 3
		.amdhsa_dx10_clamp 1
		.amdhsa_ieee_mode 1
		.amdhsa_fp16_overflow 0
		.amdhsa_exception_fp_ieee_invalid_op 0
		.amdhsa_exception_fp_denorm_src 0
		.amdhsa_exception_fp_ieee_div_zero 0
		.amdhsa_exception_fp_ieee_overflow 0
		.amdhsa_exception_fp_ieee_underflow 0
		.amdhsa_exception_fp_ieee_inexact 0
		.amdhsa_exception_int_div_zero 0
	.end_amdhsa_kernel
	.section	.text._ZL15unary_op_kernelIXadL_ZL7op_stepfEEfEvPKT0_PS0_i,"axG",@progbits,_ZL15unary_op_kernelIXadL_ZL7op_stepfEEfEvPKT0_PS0_i,comdat
.Lfunc_end7:
	.size	_ZL15unary_op_kernelIXadL_ZL7op_stepfEEfEvPKT0_PS0_i, .Lfunc_end7-_ZL15unary_op_kernelIXadL_ZL7op_stepfEEfEvPKT0_PS0_i
                                        ; -- End function
	.set _ZL15unary_op_kernelIXadL_ZL7op_stepfEEfEvPKT0_PS0_i.num_vgpr, 4
	.set _ZL15unary_op_kernelIXadL_ZL7op_stepfEEfEvPKT0_PS0_i.num_agpr, 0
	.set _ZL15unary_op_kernelIXadL_ZL7op_stepfEEfEvPKT0_PS0_i.numbered_sgpr, 7
	.set _ZL15unary_op_kernelIXadL_ZL7op_stepfEEfEvPKT0_PS0_i.num_named_barrier, 0
	.set _ZL15unary_op_kernelIXadL_ZL7op_stepfEEfEvPKT0_PS0_i.private_seg_size, 0
	.set _ZL15unary_op_kernelIXadL_ZL7op_stepfEEfEvPKT0_PS0_i.uses_vcc, 1
	.set _ZL15unary_op_kernelIXadL_ZL7op_stepfEEfEvPKT0_PS0_i.uses_flat_scratch, 0
	.set _ZL15unary_op_kernelIXadL_ZL7op_stepfEEfEvPKT0_PS0_i.has_dyn_sized_stack, 0
	.set _ZL15unary_op_kernelIXadL_ZL7op_stepfEEfEvPKT0_PS0_i.has_recursion, 0
	.set _ZL15unary_op_kernelIXadL_ZL7op_stepfEEfEvPKT0_PS0_i.has_indirect_call, 0
	.section	.AMDGPU.csdata,"",@progbits
; Kernel info:
; codeLenInByte = 132
; TotalNumSgprs: 11
; NumVgprs: 4
; ScratchSize: 0
; MemoryBound: 0
; FloatMode: 240
; IeeeMode: 1
; LDSByteSize: 0 bytes/workgroup (compile time only)
; SGPRBlocks: 1
; VGPRBlocks: 0
; NumSGPRsForWavesPerEU: 11
; NumVGPRsForWavesPerEU: 4
; Occupancy: 10
; WaveLimiterHint : 0
; COMPUTE_PGM_RSRC2:SCRATCH_EN: 0
; COMPUTE_PGM_RSRC2:USER_SGPR: 6
; COMPUTE_PGM_RSRC2:TRAP_HANDLER: 0
; COMPUTE_PGM_RSRC2:TGID_X_EN: 1
; COMPUTE_PGM_RSRC2:TGID_Y_EN: 0
; COMPUTE_PGM_RSRC2:TGID_Z_EN: 0
; COMPUTE_PGM_RSRC2:TIDIG_COMP_CNT: 0
	.section	.text._ZL15unary_op_kernelIXadL_ZL7op_gelufEE6__halfEvPKT0_PS1_i,"axG",@progbits,_ZL15unary_op_kernelIXadL_ZL7op_gelufEE6__halfEvPKT0_PS1_i,comdat
	.globl	_ZL15unary_op_kernelIXadL_ZL7op_gelufEE6__halfEvPKT0_PS1_i ; -- Begin function _ZL15unary_op_kernelIXadL_ZL7op_gelufEE6__halfEvPKT0_PS1_i
	.p2align	8
	.type	_ZL15unary_op_kernelIXadL_ZL7op_gelufEE6__halfEvPKT0_PS1_i,@function
_ZL15unary_op_kernelIXadL_ZL7op_gelufEE6__halfEvPKT0_PS1_i: ; @_ZL15unary_op_kernelIXadL_ZL7op_gelufEE6__halfEvPKT0_PS1_i
; %bb.0:
	s_load_dword s0, s[4:5], 0x24
	s_load_dword s1, s[4:5], 0x10
	s_waitcnt lgkmcnt(0)
	s_and_b32 s0, s0, 0xffff
	s_mul_i32 s6, s6, s0
	v_add_u32_e32 v0, s6, v0
	v_cmp_gt_i32_e32 vcc, s1, v0
	s_and_saveexec_b64 s[0:1], vcc
	s_cbranch_execz .LBB8_6
; %bb.1:
	s_load_dwordx4 s[0:3], s[4:5], 0x0
	v_ashrrev_i32_e32 v1, 31, v0
	v_lshlrev_b64 v[0:1], 1, v[0:1]
	s_waitcnt lgkmcnt(0)
	v_mov_b32_e32 v3, s1
	v_add_co_u32_e32 v2, vcc, s0, v0
	v_addc_co_u32_e32 v3, vcc, v3, v1, vcc
	global_load_ushort v3, v[2:3], off
	s_mov_b32 s0, 1.0
	s_waitcnt vmcnt(0)
	v_cvt_f32_f16_e32 v2, v3
	v_mul_f32_e32 v5, 0x3d372713, v2
	v_mul_f32_e32 v4, 0x3f4c422a, v2
	v_fma_mix_f32 v3, v5, v3, s0 op_sel_hi:[0,1,0]
	v_mul_f32_e32 v3, v4, v3
	s_mov_b32 s0, 0x3f200000
	v_cmp_nlt_f32_e64 s[0:1], |v3|, s0
                                        ; implicit-def: $vgpr4
	s_and_saveexec_b64 s[4:5], s[0:1]
	s_xor_b64 s[0:1], exec, s[4:5]
	s_cbranch_execz .LBB8_3
; %bb.2:
	v_add_f32_e64 v4, |v3|, |v3|
	v_mul_f32_e32 v5, 0x3fb8aa3b, v4
	s_mov_b32 s4, 0x3fb8aa3b
	v_rndne_f32_e32 v6, v5
	v_sub_f32_e32 v7, v5, v6
	v_fma_f32 v5, v4, s4, -v5
	v_fmac_f32_e32 v5, 0x32a5705f, v4
	v_add_f32_e32 v5, v7, v5
	v_exp_f32_e32 v5, v5
	v_cvt_i32_f32_e32 v6, v6
	s_mov_b32 s4, 0xc2ce8ed0
	v_cmp_ngt_f32_e32 vcc, s4, v4
	s_mov_b32 s4, 0x42b17218
	v_ldexp_f32 v5, v5, v6
	v_cndmask_b32_e32 v5, 0, v5, vcc
	v_mov_b32_e32 v6, 0x7f800000
	v_cmp_nlt_f32_e32 vcc, s4, v4
	v_cndmask_b32_e32 v4, v6, v5, vcc
	v_add_f32_e32 v4, 1.0, v4
	v_rcp_f32_e32 v4, v4
	v_fma_f32 v4, v4, -2.0, 1.0
.LBB8_3:
	s_andn2_saveexec_b64 s[0:1], s[0:1]
	s_cbranch_execz .LBB8_5
; %bb.4:
	v_mul_f32_e32 v4, v3, v3
	v_mov_b32_e32 v5, 0x3ca908c9
	v_fmac_f32_e32 v5, 0xbbbac73d, v4
	v_mov_b32_e32 v6, 0xbd5c1c4e
	v_fmac_f32_e32 v6, v4, v5
	;; [unrolled: 2-line block ×4, first 2 shown]
	v_mul_f32_e64 v5, |v3|, v6
	v_fma_f32 v4, v4, v5, |v3|
.LBB8_5:
	s_or_b64 exec, exec, s[0:1]
	s_brev_b32 s0, -2
	v_bfi_b32 v3, s0, v4, v3
	v_mul_f32_e32 v2, 0.5, v2
	v_add_f32_e32 v3, 1.0, v3
	v_fma_mixlo_f16 v2, v2, v3, 0
	v_mov_b32_e32 v3, s3
	v_add_co_u32_e32 v0, vcc, s2, v0
	v_addc_co_u32_e32 v1, vcc, v3, v1, vcc
	global_store_short v[0:1], v2, off
.LBB8_6:
	s_endpgm
	.section	.rodata,"a",@progbits
	.p2align	6, 0x0
	.amdhsa_kernel _ZL15unary_op_kernelIXadL_ZL7op_gelufEE6__halfEvPKT0_PS1_i
		.amdhsa_group_segment_fixed_size 0
		.amdhsa_private_segment_fixed_size 0
		.amdhsa_kernarg_size 280
		.amdhsa_user_sgpr_count 6
		.amdhsa_user_sgpr_private_segment_buffer 1
		.amdhsa_user_sgpr_dispatch_ptr 0
		.amdhsa_user_sgpr_queue_ptr 0
		.amdhsa_user_sgpr_kernarg_segment_ptr 1
		.amdhsa_user_sgpr_dispatch_id 0
		.amdhsa_user_sgpr_flat_scratch_init 0
		.amdhsa_user_sgpr_private_segment_size 0
		.amdhsa_uses_dynamic_stack 0
		.amdhsa_system_sgpr_private_segment_wavefront_offset 0
		.amdhsa_system_sgpr_workgroup_id_x 1
		.amdhsa_system_sgpr_workgroup_id_y 0
		.amdhsa_system_sgpr_workgroup_id_z 0
		.amdhsa_system_sgpr_workgroup_info 0
		.amdhsa_system_vgpr_workitem_id 0
		.amdhsa_next_free_vgpr 8
		.amdhsa_next_free_sgpr 7
		.amdhsa_reserve_vcc 1
		.amdhsa_reserve_flat_scratch 0
		.amdhsa_float_round_mode_32 0
		.amdhsa_float_round_mode_16_64 0
		.amdhsa_float_denorm_mode_32 3
		.amdhsa_float_denorm_mode_16_64 3
		.amdhsa_dx10_clamp 1
		.amdhsa_ieee_mode 1
		.amdhsa_fp16_overflow 0
		.amdhsa_exception_fp_ieee_invalid_op 0
		.amdhsa_exception_fp_denorm_src 0
		.amdhsa_exception_fp_ieee_div_zero 0
		.amdhsa_exception_fp_ieee_overflow 0
		.amdhsa_exception_fp_ieee_underflow 0
		.amdhsa_exception_fp_ieee_inexact 0
		.amdhsa_exception_int_div_zero 0
	.end_amdhsa_kernel
	.section	.text._ZL15unary_op_kernelIXadL_ZL7op_gelufEE6__halfEvPKT0_PS1_i,"axG",@progbits,_ZL15unary_op_kernelIXadL_ZL7op_gelufEE6__halfEvPKT0_PS1_i,comdat
.Lfunc_end8:
	.size	_ZL15unary_op_kernelIXadL_ZL7op_gelufEE6__halfEvPKT0_PS1_i, .Lfunc_end8-_ZL15unary_op_kernelIXadL_ZL7op_gelufEE6__halfEvPKT0_PS1_i
                                        ; -- End function
	.set _ZL15unary_op_kernelIXadL_ZL7op_gelufEE6__halfEvPKT0_PS1_i.num_vgpr, 8
	.set _ZL15unary_op_kernelIXadL_ZL7op_gelufEE6__halfEvPKT0_PS1_i.num_agpr, 0
	.set _ZL15unary_op_kernelIXadL_ZL7op_gelufEE6__halfEvPKT0_PS1_i.numbered_sgpr, 7
	.set _ZL15unary_op_kernelIXadL_ZL7op_gelufEE6__halfEvPKT0_PS1_i.num_named_barrier, 0
	.set _ZL15unary_op_kernelIXadL_ZL7op_gelufEE6__halfEvPKT0_PS1_i.private_seg_size, 0
	.set _ZL15unary_op_kernelIXadL_ZL7op_gelufEE6__halfEvPKT0_PS1_i.uses_vcc, 1
	.set _ZL15unary_op_kernelIXadL_ZL7op_gelufEE6__halfEvPKT0_PS1_i.uses_flat_scratch, 0
	.set _ZL15unary_op_kernelIXadL_ZL7op_gelufEE6__halfEvPKT0_PS1_i.has_dyn_sized_stack, 0
	.set _ZL15unary_op_kernelIXadL_ZL7op_gelufEE6__halfEvPKT0_PS1_i.has_recursion, 0
	.set _ZL15unary_op_kernelIXadL_ZL7op_gelufEE6__halfEvPKT0_PS1_i.has_indirect_call, 0
	.section	.AMDGPU.csdata,"",@progbits
; Kernel info:
; codeLenInByte = 420
; TotalNumSgprs: 11
; NumVgprs: 8
; ScratchSize: 0
; MemoryBound: 0
; FloatMode: 240
; IeeeMode: 1
; LDSByteSize: 0 bytes/workgroup (compile time only)
; SGPRBlocks: 1
; VGPRBlocks: 1
; NumSGPRsForWavesPerEU: 11
; NumVGPRsForWavesPerEU: 8
; Occupancy: 10
; WaveLimiterHint : 0
; COMPUTE_PGM_RSRC2:SCRATCH_EN: 0
; COMPUTE_PGM_RSRC2:USER_SGPR: 6
; COMPUTE_PGM_RSRC2:TRAP_HANDLER: 0
; COMPUTE_PGM_RSRC2:TGID_X_EN: 1
; COMPUTE_PGM_RSRC2:TGID_Y_EN: 0
; COMPUTE_PGM_RSRC2:TGID_Z_EN: 0
; COMPUTE_PGM_RSRC2:TIDIG_COMP_CNT: 0
	.section	.text._ZL15unary_op_kernelIXadL_ZL7op_gelufEEfEvPKT0_PS0_i,"axG",@progbits,_ZL15unary_op_kernelIXadL_ZL7op_gelufEEfEvPKT0_PS0_i,comdat
	.globl	_ZL15unary_op_kernelIXadL_ZL7op_gelufEEfEvPKT0_PS0_i ; -- Begin function _ZL15unary_op_kernelIXadL_ZL7op_gelufEEfEvPKT0_PS0_i
	.p2align	8
	.type	_ZL15unary_op_kernelIXadL_ZL7op_gelufEEfEvPKT0_PS0_i,@function
_ZL15unary_op_kernelIXadL_ZL7op_gelufEEfEvPKT0_PS0_i: ; @_ZL15unary_op_kernelIXadL_ZL7op_gelufEEfEvPKT0_PS0_i
; %bb.0:
	s_load_dword s0, s[4:5], 0x24
	s_load_dword s1, s[4:5], 0x10
	s_waitcnt lgkmcnt(0)
	s_and_b32 s0, s0, 0xffff
	s_mul_i32 s6, s6, s0
	v_add_u32_e32 v0, s6, v0
	v_cmp_gt_i32_e32 vcc, s1, v0
	s_and_saveexec_b64 s[0:1], vcc
	s_cbranch_execz .LBB9_6
; %bb.1:
	s_load_dwordx4 s[0:3], s[4:5], 0x0
	v_ashrrev_i32_e32 v1, 31, v0
	v_lshlrev_b64 v[0:1], 2, v[0:1]
	s_waitcnt lgkmcnt(0)
	v_mov_b32_e32 v3, s1
	v_add_co_u32_e32 v2, vcc, s0, v0
	v_addc_co_u32_e32 v3, vcc, v3, v1, vcc
	global_load_dword v2, v[2:3], off
	s_mov_b32 s0, 0x3f200000
	s_waitcnt vmcnt(0)
	v_mul_f32_e32 v4, 0x3d372713, v2
	v_mul_f32_e32 v3, 0x3f4c422a, v2
	v_fma_f32 v4, v2, v4, 1.0
	v_mul_f32_e32 v3, v3, v4
	v_cmp_nlt_f32_e64 s[0:1], |v3|, s0
                                        ; implicit-def: $vgpr4
	s_and_saveexec_b64 s[4:5], s[0:1]
	s_xor_b64 s[0:1], exec, s[4:5]
	s_cbranch_execz .LBB9_3
; %bb.2:
	v_add_f32_e64 v4, |v3|, |v3|
	v_mul_f32_e32 v5, 0x3fb8aa3b, v4
	s_mov_b32 s4, 0x3fb8aa3b
	v_rndne_f32_e32 v6, v5
	v_sub_f32_e32 v7, v5, v6
	v_fma_f32 v5, v4, s4, -v5
	v_fmac_f32_e32 v5, 0x32a5705f, v4
	v_add_f32_e32 v5, v7, v5
	v_exp_f32_e32 v5, v5
	v_cvt_i32_f32_e32 v6, v6
	s_mov_b32 s4, 0xc2ce8ed0
	v_cmp_ngt_f32_e32 vcc, s4, v4
	s_mov_b32 s4, 0x42b17218
	v_ldexp_f32 v5, v5, v6
	v_cndmask_b32_e32 v5, 0, v5, vcc
	v_mov_b32_e32 v6, 0x7f800000
	v_cmp_nlt_f32_e32 vcc, s4, v4
	v_cndmask_b32_e32 v4, v6, v5, vcc
	v_add_f32_e32 v4, 1.0, v4
	v_rcp_f32_e32 v4, v4
	v_fma_f32 v4, v4, -2.0, 1.0
.LBB9_3:
	s_andn2_saveexec_b64 s[0:1], s[0:1]
	s_cbranch_execz .LBB9_5
; %bb.4:
	v_mul_f32_e32 v4, v3, v3
	v_mov_b32_e32 v5, 0x3ca908c9
	v_fmac_f32_e32 v5, 0xbbbac73d, v4
	v_mov_b32_e32 v6, 0xbd5c1c4e
	v_fmac_f32_e32 v6, v4, v5
	;; [unrolled: 2-line block ×4, first 2 shown]
	v_mul_f32_e64 v5, |v3|, v6
	v_fma_f32 v4, v4, v5, |v3|
.LBB9_5:
	s_or_b64 exec, exec, s[0:1]
	s_brev_b32 s0, -2
	v_bfi_b32 v3, s0, v4, v3
	v_mul_f32_e32 v2, 0.5, v2
	v_add_f32_e32 v3, 1.0, v3
	v_mul_f32_e32 v2, v2, v3
	v_mov_b32_e32 v3, s3
	v_add_co_u32_e32 v0, vcc, s2, v0
	v_addc_co_u32_e32 v1, vcc, v3, v1, vcc
	global_store_dword v[0:1], v2, off
.LBB9_6:
	s_endpgm
	.section	.rodata,"a",@progbits
	.p2align	6, 0x0
	.amdhsa_kernel _ZL15unary_op_kernelIXadL_ZL7op_gelufEEfEvPKT0_PS0_i
		.amdhsa_group_segment_fixed_size 0
		.amdhsa_private_segment_fixed_size 0
		.amdhsa_kernarg_size 280
		.amdhsa_user_sgpr_count 6
		.amdhsa_user_sgpr_private_segment_buffer 1
		.amdhsa_user_sgpr_dispatch_ptr 0
		.amdhsa_user_sgpr_queue_ptr 0
		.amdhsa_user_sgpr_kernarg_segment_ptr 1
		.amdhsa_user_sgpr_dispatch_id 0
		.amdhsa_user_sgpr_flat_scratch_init 0
		.amdhsa_user_sgpr_private_segment_size 0
		.amdhsa_uses_dynamic_stack 0
		.amdhsa_system_sgpr_private_segment_wavefront_offset 0
		.amdhsa_system_sgpr_workgroup_id_x 1
		.amdhsa_system_sgpr_workgroup_id_y 0
		.amdhsa_system_sgpr_workgroup_id_z 0
		.amdhsa_system_sgpr_workgroup_info 0
		.amdhsa_system_vgpr_workitem_id 0
		.amdhsa_next_free_vgpr 8
		.amdhsa_next_free_sgpr 7
		.amdhsa_reserve_vcc 1
		.amdhsa_reserve_flat_scratch 0
		.amdhsa_float_round_mode_32 0
		.amdhsa_float_round_mode_16_64 0
		.amdhsa_float_denorm_mode_32 3
		.amdhsa_float_denorm_mode_16_64 3
		.amdhsa_dx10_clamp 1
		.amdhsa_ieee_mode 1
		.amdhsa_fp16_overflow 0
		.amdhsa_exception_fp_ieee_invalid_op 0
		.amdhsa_exception_fp_denorm_src 0
		.amdhsa_exception_fp_ieee_div_zero 0
		.amdhsa_exception_fp_ieee_overflow 0
		.amdhsa_exception_fp_ieee_underflow 0
		.amdhsa_exception_fp_ieee_inexact 0
		.amdhsa_exception_int_div_zero 0
	.end_amdhsa_kernel
	.section	.text._ZL15unary_op_kernelIXadL_ZL7op_gelufEEfEvPKT0_PS0_i,"axG",@progbits,_ZL15unary_op_kernelIXadL_ZL7op_gelufEEfEvPKT0_PS0_i,comdat
.Lfunc_end9:
	.size	_ZL15unary_op_kernelIXadL_ZL7op_gelufEEfEvPKT0_PS0_i, .Lfunc_end9-_ZL15unary_op_kernelIXadL_ZL7op_gelufEEfEvPKT0_PS0_i
                                        ; -- End function
	.set _ZL15unary_op_kernelIXadL_ZL7op_gelufEEfEvPKT0_PS0_i.num_vgpr, 8
	.set _ZL15unary_op_kernelIXadL_ZL7op_gelufEEfEvPKT0_PS0_i.num_agpr, 0
	.set _ZL15unary_op_kernelIXadL_ZL7op_gelufEEfEvPKT0_PS0_i.numbered_sgpr, 7
	.set _ZL15unary_op_kernelIXadL_ZL7op_gelufEEfEvPKT0_PS0_i.num_named_barrier, 0
	.set _ZL15unary_op_kernelIXadL_ZL7op_gelufEEfEvPKT0_PS0_i.private_seg_size, 0
	.set _ZL15unary_op_kernelIXadL_ZL7op_gelufEEfEvPKT0_PS0_i.uses_vcc, 1
	.set _ZL15unary_op_kernelIXadL_ZL7op_gelufEEfEvPKT0_PS0_i.uses_flat_scratch, 0
	.set _ZL15unary_op_kernelIXadL_ZL7op_gelufEEfEvPKT0_PS0_i.has_dyn_sized_stack, 0
	.set _ZL15unary_op_kernelIXadL_ZL7op_gelufEEfEvPKT0_PS0_i.has_recursion, 0
	.set _ZL15unary_op_kernelIXadL_ZL7op_gelufEEfEvPKT0_PS0_i.has_indirect_call, 0
	.section	.AMDGPU.csdata,"",@progbits
; Kernel info:
; codeLenInByte = 408
; TotalNumSgprs: 11
; NumVgprs: 8
; ScratchSize: 0
; MemoryBound: 0
; FloatMode: 240
; IeeeMode: 1
; LDSByteSize: 0 bytes/workgroup (compile time only)
; SGPRBlocks: 1
; VGPRBlocks: 1
; NumSGPRsForWavesPerEU: 11
; NumVGPRsForWavesPerEU: 8
; Occupancy: 10
; WaveLimiterHint : 0
; COMPUTE_PGM_RSRC2:SCRATCH_EN: 0
; COMPUTE_PGM_RSRC2:USER_SGPR: 6
; COMPUTE_PGM_RSRC2:TRAP_HANDLER: 0
; COMPUTE_PGM_RSRC2:TGID_X_EN: 1
; COMPUTE_PGM_RSRC2:TGID_Y_EN: 0
; COMPUTE_PGM_RSRC2:TGID_Z_EN: 0
; COMPUTE_PGM_RSRC2:TIDIG_COMP_CNT: 0
	.section	.text._ZL15unary_op_kernelIXadL_ZL11op_gelu_erffEE6__halfEvPKT0_PS1_i,"axG",@progbits,_ZL15unary_op_kernelIXadL_ZL11op_gelu_erffEE6__halfEvPKT0_PS1_i,comdat
	.globl	_ZL15unary_op_kernelIXadL_ZL11op_gelu_erffEE6__halfEvPKT0_PS1_i ; -- Begin function _ZL15unary_op_kernelIXadL_ZL11op_gelu_erffEE6__halfEvPKT0_PS1_i
	.p2align	8
	.type	_ZL15unary_op_kernelIXadL_ZL11op_gelu_erffEE6__halfEvPKT0_PS1_i,@function
_ZL15unary_op_kernelIXadL_ZL11op_gelu_erffEE6__halfEvPKT0_PS1_i: ; @_ZL15unary_op_kernelIXadL_ZL11op_gelu_erffEE6__halfEvPKT0_PS1_i
; %bb.0:
	s_load_dword s0, s[4:5], 0x24
	s_load_dword s1, s[4:5], 0x10
	s_waitcnt lgkmcnt(0)
	s_and_b32 s0, s0, 0xffff
	s_mul_i32 s6, s6, s0
	v_add_u32_e32 v0, s6, v0
	v_cmp_gt_i32_e32 vcc, s1, v0
	s_and_saveexec_b64 s[0:1], vcc
	s_cbranch_execz .LBB10_6
; %bb.1:
	s_load_dwordx4 s[0:3], s[4:5], 0x0
	v_ashrrev_i32_e32 v1, 31, v0
	v_lshlrev_b64 v[0:1], 1, v[0:1]
                                        ; implicit-def: $vgpr4
	s_waitcnt lgkmcnt(0)
	v_mov_b32_e32 v3, s1
	v_add_co_u32_e32 v2, vcc, s0, v0
	v_addc_co_u32_e32 v3, vcc, v3, v1, vcc
	global_load_ushort v2, v[2:3], off
	s_waitcnt vmcnt(0)
	v_cvt_f32_f16_e32 v3, v2
	v_mul_f32_e32 v2, 0x3f3504f3, v3
	v_cmp_nlt_f32_e64 s[0:1], |v2|, 1.0
	s_and_saveexec_b64 s[4:5], s[0:1]
	s_xor_b64 s[0:1], exec, s[4:5]
	s_cbranch_execz .LBB10_3
; %bb.2:
	s_mov_b32 s4, 0x378e98ab
	v_mov_b32_e32 v4, 0xb9c68948
	v_fma_f32 v4, |v2|, s4, v4
	s_mov_b32 s4, 0x3b7cd369
	v_fma_f32 v4, |v2|, v4, s4
	s_mov_b32 s4, 0xbcc618b2
	;; [unrolled: 2-line block ×5, first 2 shown]
	v_fma_f32 v4, |v2|, v4, s4
	v_fma_f32 v4, |v2|, v4, |v2|
	s_mov_b32 s4, 0xbfb8aa3b
	v_mul_f32_e32 v5, 0xbfb8aa3b, v4
	v_fma_f32 v6, v4, s4, -v5
	v_rndne_f32_e32 v7, v5
	v_fmac_f32_e32 v6, 0xb2a5705f, v4
	v_sub_f32_e32 v5, v5, v7
	v_add_f32_e32 v5, v5, v6
	v_exp_f32_e32 v5, v5
	v_cvt_i32_f32_e32 v6, v7
	s_mov_b32 s4, 0x42ce8ed0
	v_cmp_nlt_f32_e32 vcc, s4, v4
	s_mov_b32 s4, 0xc2b17218
	v_ldexp_f32 v5, v5, v6
	v_cndmask_b32_e32 v5, 0, v5, vcc
	v_mov_b32_e32 v6, 0x7f800000
	v_cmp_ngt_f32_e32 vcc, s4, v4
	v_cndmask_b32_e32 v4, v6, v5, vcc
	v_sub_f32_e32 v4, 1.0, v4
.LBB10_3:
	s_andn2_saveexec_b64 s[0:1], s[0:1]
	s_cbranch_execz .LBB10_5
; %bb.4:
	v_mul_f32_e32 v4, v2, v2
	v_mov_b32_e32 v5, 0x3ba10414
	v_fmac_f32_e32 v5, 0xba1345e1, v4
	v_mov_b32_e32 v6, 0xbcdac9b8
	v_fmac_f32_e32 v6, v4, v5
	;; [unrolled: 2-line block ×5, first 2 shown]
	v_fma_f32 v4, |v2|, v5, |v2|
.LBB10_5:
	s_or_b64 exec, exec, s[0:1]
	s_brev_b32 s0, -2
	v_bfi_b32 v2, s0, v4, v2
	v_mul_f32_e32 v3, 0.5, v3
	v_add_f32_e32 v2, 1.0, v2
	v_fma_mixlo_f16 v2, v3, v2, 0
	v_mov_b32_e32 v3, s3
	v_add_co_u32_e32 v0, vcc, s2, v0
	v_addc_co_u32_e32 v1, vcc, v3, v1, vcc
	global_store_short v[0:1], v2, off
.LBB10_6:
	s_endpgm
	.section	.rodata,"a",@progbits
	.p2align	6, 0x0
	.amdhsa_kernel _ZL15unary_op_kernelIXadL_ZL11op_gelu_erffEE6__halfEvPKT0_PS1_i
		.amdhsa_group_segment_fixed_size 0
		.amdhsa_private_segment_fixed_size 0
		.amdhsa_kernarg_size 280
		.amdhsa_user_sgpr_count 6
		.amdhsa_user_sgpr_private_segment_buffer 1
		.amdhsa_user_sgpr_dispatch_ptr 0
		.amdhsa_user_sgpr_queue_ptr 0
		.amdhsa_user_sgpr_kernarg_segment_ptr 1
		.amdhsa_user_sgpr_dispatch_id 0
		.amdhsa_user_sgpr_flat_scratch_init 0
		.amdhsa_user_sgpr_private_segment_size 0
		.amdhsa_uses_dynamic_stack 0
		.amdhsa_system_sgpr_private_segment_wavefront_offset 0
		.amdhsa_system_sgpr_workgroup_id_x 1
		.amdhsa_system_sgpr_workgroup_id_y 0
		.amdhsa_system_sgpr_workgroup_id_z 0
		.amdhsa_system_sgpr_workgroup_info 0
		.amdhsa_system_vgpr_workitem_id 0
		.amdhsa_next_free_vgpr 8
		.amdhsa_next_free_sgpr 7
		.amdhsa_reserve_vcc 1
		.amdhsa_reserve_flat_scratch 0
		.amdhsa_float_round_mode_32 0
		.amdhsa_float_round_mode_16_64 0
		.amdhsa_float_denorm_mode_32 3
		.amdhsa_float_denorm_mode_16_64 3
		.amdhsa_dx10_clamp 1
		.amdhsa_ieee_mode 1
		.amdhsa_fp16_overflow 0
		.amdhsa_exception_fp_ieee_invalid_op 0
		.amdhsa_exception_fp_denorm_src 0
		.amdhsa_exception_fp_ieee_div_zero 0
		.amdhsa_exception_fp_ieee_overflow 0
		.amdhsa_exception_fp_ieee_underflow 0
		.amdhsa_exception_fp_ieee_inexact 0
		.amdhsa_exception_int_div_zero 0
	.end_amdhsa_kernel
	.section	.text._ZL15unary_op_kernelIXadL_ZL11op_gelu_erffEE6__halfEvPKT0_PS1_i,"axG",@progbits,_ZL15unary_op_kernelIXadL_ZL11op_gelu_erffEE6__halfEvPKT0_PS1_i,comdat
.Lfunc_end10:
	.size	_ZL15unary_op_kernelIXadL_ZL11op_gelu_erffEE6__halfEvPKT0_PS1_i, .Lfunc_end10-_ZL15unary_op_kernelIXadL_ZL11op_gelu_erffEE6__halfEvPKT0_PS1_i
                                        ; -- End function
	.set _ZL15unary_op_kernelIXadL_ZL11op_gelu_erffEE6__halfEvPKT0_PS1_i.num_vgpr, 8
	.set _ZL15unary_op_kernelIXadL_ZL11op_gelu_erffEE6__halfEvPKT0_PS1_i.num_agpr, 0
	.set _ZL15unary_op_kernelIXadL_ZL11op_gelu_erffEE6__halfEvPKT0_PS1_i.numbered_sgpr, 7
	.set _ZL15unary_op_kernelIXadL_ZL11op_gelu_erffEE6__halfEvPKT0_PS1_i.num_named_barrier, 0
	.set _ZL15unary_op_kernelIXadL_ZL11op_gelu_erffEE6__halfEvPKT0_PS1_i.private_seg_size, 0
	.set _ZL15unary_op_kernelIXadL_ZL11op_gelu_erffEE6__halfEvPKT0_PS1_i.uses_vcc, 1
	.set _ZL15unary_op_kernelIXadL_ZL11op_gelu_erffEE6__halfEvPKT0_PS1_i.uses_flat_scratch, 0
	.set _ZL15unary_op_kernelIXadL_ZL11op_gelu_erffEE6__halfEvPKT0_PS1_i.has_dyn_sized_stack, 0
	.set _ZL15unary_op_kernelIXadL_ZL11op_gelu_erffEE6__halfEvPKT0_PS1_i.has_recursion, 0
	.set _ZL15unary_op_kernelIXadL_ZL11op_gelu_erffEE6__halfEvPKT0_PS1_i.has_indirect_call, 0
	.section	.AMDGPU.csdata,"",@progbits
; Kernel info:
; codeLenInByte = 484
; TotalNumSgprs: 11
; NumVgprs: 8
; ScratchSize: 0
; MemoryBound: 0
; FloatMode: 240
; IeeeMode: 1
; LDSByteSize: 0 bytes/workgroup (compile time only)
; SGPRBlocks: 1
; VGPRBlocks: 1
; NumSGPRsForWavesPerEU: 11
; NumVGPRsForWavesPerEU: 8
; Occupancy: 10
; WaveLimiterHint : 0
; COMPUTE_PGM_RSRC2:SCRATCH_EN: 0
; COMPUTE_PGM_RSRC2:USER_SGPR: 6
; COMPUTE_PGM_RSRC2:TRAP_HANDLER: 0
; COMPUTE_PGM_RSRC2:TGID_X_EN: 1
; COMPUTE_PGM_RSRC2:TGID_Y_EN: 0
; COMPUTE_PGM_RSRC2:TGID_Z_EN: 0
; COMPUTE_PGM_RSRC2:TIDIG_COMP_CNT: 0
	.section	.text._ZL15unary_op_kernelIXadL_ZL11op_gelu_erffEEfEvPKT0_PS0_i,"axG",@progbits,_ZL15unary_op_kernelIXadL_ZL11op_gelu_erffEEfEvPKT0_PS0_i,comdat
	.globl	_ZL15unary_op_kernelIXadL_ZL11op_gelu_erffEEfEvPKT0_PS0_i ; -- Begin function _ZL15unary_op_kernelIXadL_ZL11op_gelu_erffEEfEvPKT0_PS0_i
	.p2align	8
	.type	_ZL15unary_op_kernelIXadL_ZL11op_gelu_erffEEfEvPKT0_PS0_i,@function
_ZL15unary_op_kernelIXadL_ZL11op_gelu_erffEEfEvPKT0_PS0_i: ; @_ZL15unary_op_kernelIXadL_ZL11op_gelu_erffEEfEvPKT0_PS0_i
; %bb.0:
	s_load_dword s0, s[4:5], 0x24
	s_load_dword s1, s[4:5], 0x10
	s_waitcnt lgkmcnt(0)
	s_and_b32 s0, s0, 0xffff
	s_mul_i32 s6, s6, s0
	v_add_u32_e32 v0, s6, v0
	v_cmp_gt_i32_e32 vcc, s1, v0
	s_and_saveexec_b64 s[0:1], vcc
	s_cbranch_execz .LBB11_6
; %bb.1:
	s_load_dwordx4 s[0:3], s[4:5], 0x0
	v_ashrrev_i32_e32 v1, 31, v0
	v_lshlrev_b64 v[0:1], 2, v[0:1]
                                        ; implicit-def: $vgpr4
	s_waitcnt lgkmcnt(0)
	v_mov_b32_e32 v3, s1
	v_add_co_u32_e32 v2, vcc, s0, v0
	v_addc_co_u32_e32 v3, vcc, v3, v1, vcc
	global_load_dword v3, v[2:3], off
	s_waitcnt vmcnt(0)
	v_mul_f32_e32 v2, 0x3f3504f3, v3
	v_cmp_nlt_f32_e64 s[0:1], |v2|, 1.0
	s_and_saveexec_b64 s[4:5], s[0:1]
	s_xor_b64 s[0:1], exec, s[4:5]
	s_cbranch_execz .LBB11_3
; %bb.2:
	s_mov_b32 s4, 0x378e98ab
	v_mov_b32_e32 v4, 0xb9c68948
	v_fma_f32 v4, |v2|, s4, v4
	s_mov_b32 s4, 0x3b7cd369
	v_fma_f32 v4, |v2|, v4, s4
	s_mov_b32 s4, 0xbcc618b2
	;; [unrolled: 2-line block ×5, first 2 shown]
	v_fma_f32 v4, |v2|, v4, s4
	v_fma_f32 v4, |v2|, v4, |v2|
	s_mov_b32 s4, 0xbfb8aa3b
	v_mul_f32_e32 v5, 0xbfb8aa3b, v4
	v_fma_f32 v6, v4, s4, -v5
	v_rndne_f32_e32 v7, v5
	v_fmac_f32_e32 v6, 0xb2a5705f, v4
	v_sub_f32_e32 v5, v5, v7
	v_add_f32_e32 v5, v5, v6
	v_exp_f32_e32 v5, v5
	v_cvt_i32_f32_e32 v6, v7
	s_mov_b32 s4, 0x42ce8ed0
	v_cmp_nlt_f32_e32 vcc, s4, v4
	s_mov_b32 s4, 0xc2b17218
	v_ldexp_f32 v5, v5, v6
	v_cndmask_b32_e32 v5, 0, v5, vcc
	v_mov_b32_e32 v6, 0x7f800000
	v_cmp_ngt_f32_e32 vcc, s4, v4
	v_cndmask_b32_e32 v4, v6, v5, vcc
	v_sub_f32_e32 v4, 1.0, v4
.LBB11_3:
	s_andn2_saveexec_b64 s[0:1], s[0:1]
	s_cbranch_execz .LBB11_5
; %bb.4:
	v_mul_f32_e32 v4, v2, v2
	v_mov_b32_e32 v5, 0x3ba10414
	v_fmac_f32_e32 v5, 0xba1345e1, v4
	v_mov_b32_e32 v6, 0xbcdac9b8
	v_fmac_f32_e32 v6, v4, v5
	;; [unrolled: 2-line block ×5, first 2 shown]
	v_fma_f32 v4, |v2|, v5, |v2|
.LBB11_5:
	s_or_b64 exec, exec, s[0:1]
	s_brev_b32 s0, -2
	v_bfi_b32 v2, s0, v4, v2
	v_mul_f32_e32 v3, 0.5, v3
	v_add_f32_e32 v2, 1.0, v2
	v_mul_f32_e32 v2, v3, v2
	v_mov_b32_e32 v3, s3
	v_add_co_u32_e32 v0, vcc, s2, v0
	v_addc_co_u32_e32 v1, vcc, v3, v1, vcc
	global_store_dword v[0:1], v2, off
.LBB11_6:
	s_endpgm
	.section	.rodata,"a",@progbits
	.p2align	6, 0x0
	.amdhsa_kernel _ZL15unary_op_kernelIXadL_ZL11op_gelu_erffEEfEvPKT0_PS0_i
		.amdhsa_group_segment_fixed_size 0
		.amdhsa_private_segment_fixed_size 0
		.amdhsa_kernarg_size 280
		.amdhsa_user_sgpr_count 6
		.amdhsa_user_sgpr_private_segment_buffer 1
		.amdhsa_user_sgpr_dispatch_ptr 0
		.amdhsa_user_sgpr_queue_ptr 0
		.amdhsa_user_sgpr_kernarg_segment_ptr 1
		.amdhsa_user_sgpr_dispatch_id 0
		.amdhsa_user_sgpr_flat_scratch_init 0
		.amdhsa_user_sgpr_private_segment_size 0
		.amdhsa_uses_dynamic_stack 0
		.amdhsa_system_sgpr_private_segment_wavefront_offset 0
		.amdhsa_system_sgpr_workgroup_id_x 1
		.amdhsa_system_sgpr_workgroup_id_y 0
		.amdhsa_system_sgpr_workgroup_id_z 0
		.amdhsa_system_sgpr_workgroup_info 0
		.amdhsa_system_vgpr_workitem_id 0
		.amdhsa_next_free_vgpr 8
		.amdhsa_next_free_sgpr 7
		.amdhsa_reserve_vcc 1
		.amdhsa_reserve_flat_scratch 0
		.amdhsa_float_round_mode_32 0
		.amdhsa_float_round_mode_16_64 0
		.amdhsa_float_denorm_mode_32 3
		.amdhsa_float_denorm_mode_16_64 3
		.amdhsa_dx10_clamp 1
		.amdhsa_ieee_mode 1
		.amdhsa_fp16_overflow 0
		.amdhsa_exception_fp_ieee_invalid_op 0
		.amdhsa_exception_fp_denorm_src 0
		.amdhsa_exception_fp_ieee_div_zero 0
		.amdhsa_exception_fp_ieee_overflow 0
		.amdhsa_exception_fp_ieee_underflow 0
		.amdhsa_exception_fp_ieee_inexact 0
		.amdhsa_exception_int_div_zero 0
	.end_amdhsa_kernel
	.section	.text._ZL15unary_op_kernelIXadL_ZL11op_gelu_erffEEfEvPKT0_PS0_i,"axG",@progbits,_ZL15unary_op_kernelIXadL_ZL11op_gelu_erffEEfEvPKT0_PS0_i,comdat
.Lfunc_end11:
	.size	_ZL15unary_op_kernelIXadL_ZL11op_gelu_erffEEfEvPKT0_PS0_i, .Lfunc_end11-_ZL15unary_op_kernelIXadL_ZL11op_gelu_erffEEfEvPKT0_PS0_i
                                        ; -- End function
	.set _ZL15unary_op_kernelIXadL_ZL11op_gelu_erffEEfEvPKT0_PS0_i.num_vgpr, 8
	.set _ZL15unary_op_kernelIXadL_ZL11op_gelu_erffEEfEvPKT0_PS0_i.num_agpr, 0
	.set _ZL15unary_op_kernelIXadL_ZL11op_gelu_erffEEfEvPKT0_PS0_i.numbered_sgpr, 7
	.set _ZL15unary_op_kernelIXadL_ZL11op_gelu_erffEEfEvPKT0_PS0_i.num_named_barrier, 0
	.set _ZL15unary_op_kernelIXadL_ZL11op_gelu_erffEEfEvPKT0_PS0_i.private_seg_size, 0
	.set _ZL15unary_op_kernelIXadL_ZL11op_gelu_erffEEfEvPKT0_PS0_i.uses_vcc, 1
	.set _ZL15unary_op_kernelIXadL_ZL11op_gelu_erffEEfEvPKT0_PS0_i.uses_flat_scratch, 0
	.set _ZL15unary_op_kernelIXadL_ZL11op_gelu_erffEEfEvPKT0_PS0_i.has_dyn_sized_stack, 0
	.set _ZL15unary_op_kernelIXadL_ZL11op_gelu_erffEEfEvPKT0_PS0_i.has_recursion, 0
	.set _ZL15unary_op_kernelIXadL_ZL11op_gelu_erffEEfEvPKT0_PS0_i.has_indirect_call, 0
	.section	.AMDGPU.csdata,"",@progbits
; Kernel info:
; codeLenInByte = 476
; TotalNumSgprs: 11
; NumVgprs: 8
; ScratchSize: 0
; MemoryBound: 0
; FloatMode: 240
; IeeeMode: 1
; LDSByteSize: 0 bytes/workgroup (compile time only)
; SGPRBlocks: 1
; VGPRBlocks: 1
; NumSGPRsForWavesPerEU: 11
; NumVGPRsForWavesPerEU: 8
; Occupancy: 10
; WaveLimiterHint : 0
; COMPUTE_PGM_RSRC2:SCRATCH_EN: 0
; COMPUTE_PGM_RSRC2:USER_SGPR: 6
; COMPUTE_PGM_RSRC2:TRAP_HANDLER: 0
; COMPUTE_PGM_RSRC2:TGID_X_EN: 1
; COMPUTE_PGM_RSRC2:TGID_Y_EN: 0
; COMPUTE_PGM_RSRC2:TGID_Z_EN: 0
; COMPUTE_PGM_RSRC2:TIDIG_COMP_CNT: 0
	.section	.text._ZL15unary_op_kernelIXadL_ZL13op_gelu_quickfEE6__halfEvPKT0_PS1_i,"axG",@progbits,_ZL15unary_op_kernelIXadL_ZL13op_gelu_quickfEE6__halfEvPKT0_PS1_i,comdat
	.globl	_ZL15unary_op_kernelIXadL_ZL13op_gelu_quickfEE6__halfEvPKT0_PS1_i ; -- Begin function _ZL15unary_op_kernelIXadL_ZL13op_gelu_quickfEE6__halfEvPKT0_PS1_i
	.p2align	8
	.type	_ZL15unary_op_kernelIXadL_ZL13op_gelu_quickfEE6__halfEvPKT0_PS1_i,@function
_ZL15unary_op_kernelIXadL_ZL13op_gelu_quickfEE6__halfEvPKT0_PS1_i: ; @_ZL15unary_op_kernelIXadL_ZL13op_gelu_quickfEE6__halfEvPKT0_PS1_i
; %bb.0:
	s_load_dword s0, s[4:5], 0x24
	s_load_dword s1, s[4:5], 0x10
	s_waitcnt lgkmcnt(0)
	s_and_b32 s0, s0, 0xffff
	s_mul_i32 s6, s6, s0
	v_add_u32_e32 v0, s6, v0
	v_cmp_gt_i32_e32 vcc, s1, v0
	s_and_saveexec_b64 s[0:1], vcc
	s_cbranch_execz .LBB12_2
; %bb.1:
	s_load_dwordx4 s[0:3], s[4:5], 0x0
	v_ashrrev_i32_e32 v1, 31, v0
	v_lshlrev_b64 v[0:1], 1, v[0:1]
	s_waitcnt lgkmcnt(0)
	v_mov_b32_e32 v3, s1
	v_add_co_u32_e32 v2, vcc, s0, v0
	v_addc_co_u32_e32 v3, vcc, v3, v1, vcc
	global_load_ushort v2, v[2:3], off
	s_mov_b32 s0, 0x3fb8aa3b
	s_mov_b32 s1, 0x42b17218
	s_waitcnt vmcnt(0)
	v_cvt_f32_f16_e32 v3, v2
	v_mul_f32_e32 v3, 0xbfd9db23, v3
	v_mul_f32_e32 v4, 0x3fb8aa3b, v3
	v_fma_f32 v5, v3, s0, -v4
	v_rndne_f32_e32 v6, v4
	v_fmac_f32_e32 v5, 0x32a5705f, v3
	v_sub_f32_e32 v4, v4, v6
	v_add_f32_e32 v4, v4, v5
	v_cvt_i32_f32_e32 v6, v6
	v_exp_f32_e32 v4, v4
	s_mov_b32 s0, 0xc2ce8ed0
	v_cmp_ngt_f32_e32 vcc, s0, v3
	v_mov_b32_e32 v5, 0x7f800000
	v_ldexp_f32 v4, v4, v6
	v_cndmask_b32_e32 v4, 0, v4, vcc
	v_cmp_nlt_f32_e32 vcc, s1, v3
	v_cndmask_b32_e32 v3, v5, v4, vcc
	v_add_f32_e32 v3, 1.0, v3
	v_div_scale_f32 v4, s[0:1], v3, v3, 1.0
	v_div_scale_f32 v5, vcc, 1.0, v3, 1.0
	v_rcp_f32_e32 v6, v4
	v_fma_f32 v7, -v4, v6, 1.0
	v_fmac_f32_e32 v6, v7, v6
	v_mul_f32_e32 v7, v5, v6
	v_fma_f32 v8, -v4, v7, v5
	v_fmac_f32_e32 v7, v8, v6
	v_fma_f32 v4, -v4, v7, v5
	v_div_fmas_f32 v4, v4, v6, v7
	v_mov_b32_e32 v5, s3
	v_add_co_u32_e32 v0, vcc, s2, v0
	v_addc_co_u32_e32 v1, vcc, v5, v1, vcc
	v_div_fixup_f32 v3, v4, v3, 1.0
	v_fma_mixlo_f16 v2, v3, v2, 0 op_sel_hi:[0,1,0]
	global_store_short v[0:1], v2, off
.LBB12_2:
	s_endpgm
	.section	.rodata,"a",@progbits
	.p2align	6, 0x0
	.amdhsa_kernel _ZL15unary_op_kernelIXadL_ZL13op_gelu_quickfEE6__halfEvPKT0_PS1_i
		.amdhsa_group_segment_fixed_size 0
		.amdhsa_private_segment_fixed_size 0
		.amdhsa_kernarg_size 280
		.amdhsa_user_sgpr_count 6
		.amdhsa_user_sgpr_private_segment_buffer 1
		.amdhsa_user_sgpr_dispatch_ptr 0
		.amdhsa_user_sgpr_queue_ptr 0
		.amdhsa_user_sgpr_kernarg_segment_ptr 1
		.amdhsa_user_sgpr_dispatch_id 0
		.amdhsa_user_sgpr_flat_scratch_init 0
		.amdhsa_user_sgpr_private_segment_size 0
		.amdhsa_uses_dynamic_stack 0
		.amdhsa_system_sgpr_private_segment_wavefront_offset 0
		.amdhsa_system_sgpr_workgroup_id_x 1
		.amdhsa_system_sgpr_workgroup_id_y 0
		.amdhsa_system_sgpr_workgroup_id_z 0
		.amdhsa_system_sgpr_workgroup_info 0
		.amdhsa_system_vgpr_workitem_id 0
		.amdhsa_next_free_vgpr 9
		.amdhsa_next_free_sgpr 7
		.amdhsa_reserve_vcc 1
		.amdhsa_reserve_flat_scratch 0
		.amdhsa_float_round_mode_32 0
		.amdhsa_float_round_mode_16_64 0
		.amdhsa_float_denorm_mode_32 3
		.amdhsa_float_denorm_mode_16_64 3
		.amdhsa_dx10_clamp 1
		.amdhsa_ieee_mode 1
		.amdhsa_fp16_overflow 0
		.amdhsa_exception_fp_ieee_invalid_op 0
		.amdhsa_exception_fp_denorm_src 0
		.amdhsa_exception_fp_ieee_div_zero 0
		.amdhsa_exception_fp_ieee_overflow 0
		.amdhsa_exception_fp_ieee_underflow 0
		.amdhsa_exception_fp_ieee_inexact 0
		.amdhsa_exception_int_div_zero 0
	.end_amdhsa_kernel
	.section	.text._ZL15unary_op_kernelIXadL_ZL13op_gelu_quickfEE6__halfEvPKT0_PS1_i,"axG",@progbits,_ZL15unary_op_kernelIXadL_ZL13op_gelu_quickfEE6__halfEvPKT0_PS1_i,comdat
.Lfunc_end12:
	.size	_ZL15unary_op_kernelIXadL_ZL13op_gelu_quickfEE6__halfEvPKT0_PS1_i, .Lfunc_end12-_ZL15unary_op_kernelIXadL_ZL13op_gelu_quickfEE6__halfEvPKT0_PS1_i
                                        ; -- End function
	.set _ZL15unary_op_kernelIXadL_ZL13op_gelu_quickfEE6__halfEvPKT0_PS1_i.num_vgpr, 9
	.set _ZL15unary_op_kernelIXadL_ZL13op_gelu_quickfEE6__halfEvPKT0_PS1_i.num_agpr, 0
	.set _ZL15unary_op_kernelIXadL_ZL13op_gelu_quickfEE6__halfEvPKT0_PS1_i.numbered_sgpr, 7
	.set _ZL15unary_op_kernelIXadL_ZL13op_gelu_quickfEE6__halfEvPKT0_PS1_i.num_named_barrier, 0
	.set _ZL15unary_op_kernelIXadL_ZL13op_gelu_quickfEE6__halfEvPKT0_PS1_i.private_seg_size, 0
	.set _ZL15unary_op_kernelIXadL_ZL13op_gelu_quickfEE6__halfEvPKT0_PS1_i.uses_vcc, 1
	.set _ZL15unary_op_kernelIXadL_ZL13op_gelu_quickfEE6__halfEvPKT0_PS1_i.uses_flat_scratch, 0
	.set _ZL15unary_op_kernelIXadL_ZL13op_gelu_quickfEE6__halfEvPKT0_PS1_i.has_dyn_sized_stack, 0
	.set _ZL15unary_op_kernelIXadL_ZL13op_gelu_quickfEE6__halfEvPKT0_PS1_i.has_recursion, 0
	.set _ZL15unary_op_kernelIXadL_ZL13op_gelu_quickfEE6__halfEvPKT0_PS1_i.has_indirect_call, 0
	.section	.AMDGPU.csdata,"",@progbits
; Kernel info:
; codeLenInByte = 316
; TotalNumSgprs: 11
; NumVgprs: 9
; ScratchSize: 0
; MemoryBound: 0
; FloatMode: 240
; IeeeMode: 1
; LDSByteSize: 0 bytes/workgroup (compile time only)
; SGPRBlocks: 1
; VGPRBlocks: 2
; NumSGPRsForWavesPerEU: 11
; NumVGPRsForWavesPerEU: 9
; Occupancy: 10
; WaveLimiterHint : 0
; COMPUTE_PGM_RSRC2:SCRATCH_EN: 0
; COMPUTE_PGM_RSRC2:USER_SGPR: 6
; COMPUTE_PGM_RSRC2:TRAP_HANDLER: 0
; COMPUTE_PGM_RSRC2:TGID_X_EN: 1
; COMPUTE_PGM_RSRC2:TGID_Y_EN: 0
; COMPUTE_PGM_RSRC2:TGID_Z_EN: 0
; COMPUTE_PGM_RSRC2:TIDIG_COMP_CNT: 0
	.section	.text._ZL15unary_op_kernelIXadL_ZL13op_gelu_quickfEEfEvPKT0_PS0_i,"axG",@progbits,_ZL15unary_op_kernelIXadL_ZL13op_gelu_quickfEEfEvPKT0_PS0_i,comdat
	.globl	_ZL15unary_op_kernelIXadL_ZL13op_gelu_quickfEEfEvPKT0_PS0_i ; -- Begin function _ZL15unary_op_kernelIXadL_ZL13op_gelu_quickfEEfEvPKT0_PS0_i
	.p2align	8
	.type	_ZL15unary_op_kernelIXadL_ZL13op_gelu_quickfEEfEvPKT0_PS0_i,@function
_ZL15unary_op_kernelIXadL_ZL13op_gelu_quickfEEfEvPKT0_PS0_i: ; @_ZL15unary_op_kernelIXadL_ZL13op_gelu_quickfEEfEvPKT0_PS0_i
; %bb.0:
	s_load_dword s0, s[4:5], 0x24
	s_load_dword s1, s[4:5], 0x10
	s_waitcnt lgkmcnt(0)
	s_and_b32 s0, s0, 0xffff
	s_mul_i32 s6, s6, s0
	v_add_u32_e32 v0, s6, v0
	v_cmp_gt_i32_e32 vcc, s1, v0
	s_and_saveexec_b64 s[0:1], vcc
	s_cbranch_execz .LBB13_2
; %bb.1:
	s_load_dwordx4 s[0:3], s[4:5], 0x0
	v_ashrrev_i32_e32 v1, 31, v0
	v_lshlrev_b64 v[0:1], 2, v[0:1]
	s_waitcnt lgkmcnt(0)
	v_mov_b32_e32 v3, s1
	v_add_co_u32_e32 v2, vcc, s0, v0
	v_addc_co_u32_e32 v3, vcc, v3, v1, vcc
	global_load_dword v2, v[2:3], off
	s_mov_b32 s0, 0x3fb8aa3b
	s_mov_b32 s1, 0x42b17218
	s_waitcnt vmcnt(0)
	v_mul_f32_e32 v3, 0xbfd9db23, v2
	v_mul_f32_e32 v4, 0x3fb8aa3b, v3
	v_fma_f32 v5, v3, s0, -v4
	v_rndne_f32_e32 v6, v4
	v_fmac_f32_e32 v5, 0x32a5705f, v3
	v_sub_f32_e32 v4, v4, v6
	v_add_f32_e32 v4, v4, v5
	v_cvt_i32_f32_e32 v6, v6
	v_exp_f32_e32 v4, v4
	s_mov_b32 s0, 0xc2ce8ed0
	v_cmp_ngt_f32_e32 vcc, s0, v3
	v_mov_b32_e32 v5, 0x7f800000
	v_ldexp_f32 v4, v4, v6
	v_cndmask_b32_e32 v4, 0, v4, vcc
	v_cmp_nlt_f32_e32 vcc, s1, v3
	v_cndmask_b32_e32 v3, v5, v4, vcc
	v_add_f32_e32 v3, 1.0, v3
	v_div_scale_f32 v4, s[0:1], v3, v3, 1.0
	v_div_scale_f32 v5, vcc, 1.0, v3, 1.0
	v_rcp_f32_e32 v6, v4
	v_fma_f32 v7, -v4, v6, 1.0
	v_fmac_f32_e32 v6, v7, v6
	v_mul_f32_e32 v7, v5, v6
	v_fma_f32 v8, -v4, v7, v5
	v_fmac_f32_e32 v7, v8, v6
	v_fma_f32 v4, -v4, v7, v5
	v_div_fmas_f32 v4, v4, v6, v7
	v_mov_b32_e32 v5, s3
	v_add_co_u32_e32 v0, vcc, s2, v0
	v_addc_co_u32_e32 v1, vcc, v5, v1, vcc
	v_div_fixup_f32 v3, v4, v3, 1.0
	v_mul_f32_e32 v2, v2, v3
	global_store_dword v[0:1], v2, off
.LBB13_2:
	s_endpgm
	.section	.rodata,"a",@progbits
	.p2align	6, 0x0
	.amdhsa_kernel _ZL15unary_op_kernelIXadL_ZL13op_gelu_quickfEEfEvPKT0_PS0_i
		.amdhsa_group_segment_fixed_size 0
		.amdhsa_private_segment_fixed_size 0
		.amdhsa_kernarg_size 280
		.amdhsa_user_sgpr_count 6
		.amdhsa_user_sgpr_private_segment_buffer 1
		.amdhsa_user_sgpr_dispatch_ptr 0
		.amdhsa_user_sgpr_queue_ptr 0
		.amdhsa_user_sgpr_kernarg_segment_ptr 1
		.amdhsa_user_sgpr_dispatch_id 0
		.amdhsa_user_sgpr_flat_scratch_init 0
		.amdhsa_user_sgpr_private_segment_size 0
		.amdhsa_uses_dynamic_stack 0
		.amdhsa_system_sgpr_private_segment_wavefront_offset 0
		.amdhsa_system_sgpr_workgroup_id_x 1
		.amdhsa_system_sgpr_workgroup_id_y 0
		.amdhsa_system_sgpr_workgroup_id_z 0
		.amdhsa_system_sgpr_workgroup_info 0
		.amdhsa_system_vgpr_workitem_id 0
		.amdhsa_next_free_vgpr 9
		.amdhsa_next_free_sgpr 7
		.amdhsa_reserve_vcc 1
		.amdhsa_reserve_flat_scratch 0
		.amdhsa_float_round_mode_32 0
		.amdhsa_float_round_mode_16_64 0
		.amdhsa_float_denorm_mode_32 3
		.amdhsa_float_denorm_mode_16_64 3
		.amdhsa_dx10_clamp 1
		.amdhsa_ieee_mode 1
		.amdhsa_fp16_overflow 0
		.amdhsa_exception_fp_ieee_invalid_op 0
		.amdhsa_exception_fp_denorm_src 0
		.amdhsa_exception_fp_ieee_div_zero 0
		.amdhsa_exception_fp_ieee_overflow 0
		.amdhsa_exception_fp_ieee_underflow 0
		.amdhsa_exception_fp_ieee_inexact 0
		.amdhsa_exception_int_div_zero 0
	.end_amdhsa_kernel
	.section	.text._ZL15unary_op_kernelIXadL_ZL13op_gelu_quickfEEfEvPKT0_PS0_i,"axG",@progbits,_ZL15unary_op_kernelIXadL_ZL13op_gelu_quickfEEfEvPKT0_PS0_i,comdat
.Lfunc_end13:
	.size	_ZL15unary_op_kernelIXadL_ZL13op_gelu_quickfEEfEvPKT0_PS0_i, .Lfunc_end13-_ZL15unary_op_kernelIXadL_ZL13op_gelu_quickfEEfEvPKT0_PS0_i
                                        ; -- End function
	.set _ZL15unary_op_kernelIXadL_ZL13op_gelu_quickfEEfEvPKT0_PS0_i.num_vgpr, 9
	.set _ZL15unary_op_kernelIXadL_ZL13op_gelu_quickfEEfEvPKT0_PS0_i.num_agpr, 0
	.set _ZL15unary_op_kernelIXadL_ZL13op_gelu_quickfEEfEvPKT0_PS0_i.numbered_sgpr, 7
	.set _ZL15unary_op_kernelIXadL_ZL13op_gelu_quickfEEfEvPKT0_PS0_i.num_named_barrier, 0
	.set _ZL15unary_op_kernelIXadL_ZL13op_gelu_quickfEEfEvPKT0_PS0_i.private_seg_size, 0
	.set _ZL15unary_op_kernelIXadL_ZL13op_gelu_quickfEEfEvPKT0_PS0_i.uses_vcc, 1
	.set _ZL15unary_op_kernelIXadL_ZL13op_gelu_quickfEEfEvPKT0_PS0_i.uses_flat_scratch, 0
	.set _ZL15unary_op_kernelIXadL_ZL13op_gelu_quickfEEfEvPKT0_PS0_i.has_dyn_sized_stack, 0
	.set _ZL15unary_op_kernelIXadL_ZL13op_gelu_quickfEEfEvPKT0_PS0_i.has_recursion, 0
	.set _ZL15unary_op_kernelIXadL_ZL13op_gelu_quickfEEfEvPKT0_PS0_i.has_indirect_call, 0
	.section	.AMDGPU.csdata,"",@progbits
; Kernel info:
; codeLenInByte = 308
; TotalNumSgprs: 11
; NumVgprs: 9
; ScratchSize: 0
; MemoryBound: 0
; FloatMode: 240
; IeeeMode: 1
; LDSByteSize: 0 bytes/workgroup (compile time only)
; SGPRBlocks: 1
; VGPRBlocks: 2
; NumSGPRsForWavesPerEU: 11
; NumVGPRsForWavesPerEU: 9
; Occupancy: 10
; WaveLimiterHint : 0
; COMPUTE_PGM_RSRC2:SCRATCH_EN: 0
; COMPUTE_PGM_RSRC2:USER_SGPR: 6
; COMPUTE_PGM_RSRC2:TRAP_HANDLER: 0
; COMPUTE_PGM_RSRC2:TGID_X_EN: 1
; COMPUTE_PGM_RSRC2:TGID_Y_EN: 0
; COMPUTE_PGM_RSRC2:TGID_Z_EN: 0
; COMPUTE_PGM_RSRC2:TIDIG_COMP_CNT: 0
	.section	.text._ZL15unary_op_kernelIXadL_ZL7op_silufEE6__halfEvPKT0_PS1_i,"axG",@progbits,_ZL15unary_op_kernelIXadL_ZL7op_silufEE6__halfEvPKT0_PS1_i,comdat
	.globl	_ZL15unary_op_kernelIXadL_ZL7op_silufEE6__halfEvPKT0_PS1_i ; -- Begin function _ZL15unary_op_kernelIXadL_ZL7op_silufEE6__halfEvPKT0_PS1_i
	.p2align	8
	.type	_ZL15unary_op_kernelIXadL_ZL7op_silufEE6__halfEvPKT0_PS1_i,@function
_ZL15unary_op_kernelIXadL_ZL7op_silufEE6__halfEvPKT0_PS1_i: ; @_ZL15unary_op_kernelIXadL_ZL7op_silufEE6__halfEvPKT0_PS1_i
; %bb.0:
	s_load_dword s0, s[4:5], 0x24
	s_load_dword s1, s[4:5], 0x10
	s_waitcnt lgkmcnt(0)
	s_and_b32 s0, s0, 0xffff
	s_mul_i32 s6, s6, s0
	v_add_u32_e32 v0, s6, v0
	v_cmp_gt_i32_e32 vcc, s1, v0
	s_and_saveexec_b64 s[0:1], vcc
	s_cbranch_execz .LBB14_2
; %bb.1:
	s_load_dwordx4 s[0:3], s[4:5], 0x0
	v_ashrrev_i32_e32 v1, 31, v0
	v_lshlrev_b64 v[0:1], 1, v[0:1]
	s_waitcnt lgkmcnt(0)
	v_mov_b32_e32 v3, s1
	v_add_co_u32_e32 v2, vcc, s0, v0
	v_addc_co_u32_e32 v3, vcc, v3, v1, vcc
	global_load_ushort v2, v[2:3], off
	s_mov_b32 s0, 0xbfb8aa3b
	s_mov_b32 s1, 0xb2a5705f
	s_waitcnt vmcnt(0)
	v_cvt_f32_f16_e32 v3, v2
	v_mul_f32_e32 v4, 0xbfb8aa3b, v3
	v_fma_mix_f32 v5, v2, s0, -v4 op_sel_hi:[1,0,0]
	v_rndne_f32_e32 v6, v4
	v_fma_mix_f32 v2, v2, s1, v5 op_sel_hi:[1,0,0]
	v_sub_f32_e32 v4, v4, v6
	v_add_f32_e32 v2, v4, v2
	v_cvt_i32_f32_e32 v5, v6
	v_exp_f32_e32 v2, v2
	s_mov_b32 s0, 0x42ce8ed0
	s_mov_b32 s1, 0xc2b17218
	v_cmp_nlt_f32_e32 vcc, s0, v3
	v_ldexp_f32 v2, v2, v5
	v_mov_b32_e32 v4, 0x7f800000
	v_cndmask_b32_e32 v2, 0, v2, vcc
	v_cmp_ngt_f32_e32 vcc, s1, v3
	v_cndmask_b32_e32 v2, v4, v2, vcc
	v_add_f32_e32 v2, 1.0, v2
	v_div_scale_f32 v4, s[0:1], v2, v2, v3
	v_div_scale_f32 v5, vcc, v3, v2, v3
	v_rcp_f32_e32 v6, v4
	v_fma_f32 v7, -v4, v6, 1.0
	v_fmac_f32_e32 v6, v7, v6
	v_mul_f32_e32 v7, v5, v6
	v_fma_f32 v8, -v4, v7, v5
	v_fmac_f32_e32 v7, v8, v6
	v_fma_f32 v4, -v4, v7, v5
	v_div_fmas_f32 v4, v4, v6, v7
	v_mov_b32_e32 v5, s3
	v_add_co_u32_e32 v0, vcc, s2, v0
	v_addc_co_u32_e32 v1, vcc, v5, v1, vcc
	v_div_fixup_f32 v2, v4, v2, v3
	v_cvt_f16_f32_e32 v2, v2
	global_store_short v[0:1], v2, off
.LBB14_2:
	s_endpgm
	.section	.rodata,"a",@progbits
	.p2align	6, 0x0
	.amdhsa_kernel _ZL15unary_op_kernelIXadL_ZL7op_silufEE6__halfEvPKT0_PS1_i
		.amdhsa_group_segment_fixed_size 0
		.amdhsa_private_segment_fixed_size 0
		.amdhsa_kernarg_size 280
		.amdhsa_user_sgpr_count 6
		.amdhsa_user_sgpr_private_segment_buffer 1
		.amdhsa_user_sgpr_dispatch_ptr 0
		.amdhsa_user_sgpr_queue_ptr 0
		.amdhsa_user_sgpr_kernarg_segment_ptr 1
		.amdhsa_user_sgpr_dispatch_id 0
		.amdhsa_user_sgpr_flat_scratch_init 0
		.amdhsa_user_sgpr_private_segment_size 0
		.amdhsa_uses_dynamic_stack 0
		.amdhsa_system_sgpr_private_segment_wavefront_offset 0
		.amdhsa_system_sgpr_workgroup_id_x 1
		.amdhsa_system_sgpr_workgroup_id_y 0
		.amdhsa_system_sgpr_workgroup_id_z 0
		.amdhsa_system_sgpr_workgroup_info 0
		.amdhsa_system_vgpr_workitem_id 0
		.amdhsa_next_free_vgpr 9
		.amdhsa_next_free_sgpr 7
		.amdhsa_reserve_vcc 1
		.amdhsa_reserve_flat_scratch 0
		.amdhsa_float_round_mode_32 0
		.amdhsa_float_round_mode_16_64 0
		.amdhsa_float_denorm_mode_32 3
		.amdhsa_float_denorm_mode_16_64 3
		.amdhsa_dx10_clamp 1
		.amdhsa_ieee_mode 1
		.amdhsa_fp16_overflow 0
		.amdhsa_exception_fp_ieee_invalid_op 0
		.amdhsa_exception_fp_denorm_src 0
		.amdhsa_exception_fp_ieee_div_zero 0
		.amdhsa_exception_fp_ieee_overflow 0
		.amdhsa_exception_fp_ieee_underflow 0
		.amdhsa_exception_fp_ieee_inexact 0
		.amdhsa_exception_int_div_zero 0
	.end_amdhsa_kernel
	.section	.text._ZL15unary_op_kernelIXadL_ZL7op_silufEE6__halfEvPKT0_PS1_i,"axG",@progbits,_ZL15unary_op_kernelIXadL_ZL7op_silufEE6__halfEvPKT0_PS1_i,comdat
.Lfunc_end14:
	.size	_ZL15unary_op_kernelIXadL_ZL7op_silufEE6__halfEvPKT0_PS1_i, .Lfunc_end14-_ZL15unary_op_kernelIXadL_ZL7op_silufEE6__halfEvPKT0_PS1_i
                                        ; -- End function
	.set _ZL15unary_op_kernelIXadL_ZL7op_silufEE6__halfEvPKT0_PS1_i.num_vgpr, 9
	.set _ZL15unary_op_kernelIXadL_ZL7op_silufEE6__halfEvPKT0_PS1_i.num_agpr, 0
	.set _ZL15unary_op_kernelIXadL_ZL7op_silufEE6__halfEvPKT0_PS1_i.numbered_sgpr, 7
	.set _ZL15unary_op_kernelIXadL_ZL7op_silufEE6__halfEvPKT0_PS1_i.num_named_barrier, 0
	.set _ZL15unary_op_kernelIXadL_ZL7op_silufEE6__halfEvPKT0_PS1_i.private_seg_size, 0
	.set _ZL15unary_op_kernelIXadL_ZL7op_silufEE6__halfEvPKT0_PS1_i.uses_vcc, 1
	.set _ZL15unary_op_kernelIXadL_ZL7op_silufEE6__halfEvPKT0_PS1_i.uses_flat_scratch, 0
	.set _ZL15unary_op_kernelIXadL_ZL7op_silufEE6__halfEvPKT0_PS1_i.has_dyn_sized_stack, 0
	.set _ZL15unary_op_kernelIXadL_ZL7op_silufEE6__halfEvPKT0_PS1_i.has_recursion, 0
	.set _ZL15unary_op_kernelIXadL_ZL7op_silufEE6__halfEvPKT0_PS1_i.has_indirect_call, 0
	.section	.AMDGPU.csdata,"",@progbits
; Kernel info:
; codeLenInByte = 312
; TotalNumSgprs: 11
; NumVgprs: 9
; ScratchSize: 0
; MemoryBound: 0
; FloatMode: 240
; IeeeMode: 1
; LDSByteSize: 0 bytes/workgroup (compile time only)
; SGPRBlocks: 1
; VGPRBlocks: 2
; NumSGPRsForWavesPerEU: 11
; NumVGPRsForWavesPerEU: 9
; Occupancy: 10
; WaveLimiterHint : 0
; COMPUTE_PGM_RSRC2:SCRATCH_EN: 0
; COMPUTE_PGM_RSRC2:USER_SGPR: 6
; COMPUTE_PGM_RSRC2:TRAP_HANDLER: 0
; COMPUTE_PGM_RSRC2:TGID_X_EN: 1
; COMPUTE_PGM_RSRC2:TGID_Y_EN: 0
; COMPUTE_PGM_RSRC2:TGID_Z_EN: 0
; COMPUTE_PGM_RSRC2:TIDIG_COMP_CNT: 0
	.section	.text._ZL15unary_op_kernelIXadL_ZL7op_silufEEfEvPKT0_PS0_i,"axG",@progbits,_ZL15unary_op_kernelIXadL_ZL7op_silufEEfEvPKT0_PS0_i,comdat
	.globl	_ZL15unary_op_kernelIXadL_ZL7op_silufEEfEvPKT0_PS0_i ; -- Begin function _ZL15unary_op_kernelIXadL_ZL7op_silufEEfEvPKT0_PS0_i
	.p2align	8
	.type	_ZL15unary_op_kernelIXadL_ZL7op_silufEEfEvPKT0_PS0_i,@function
_ZL15unary_op_kernelIXadL_ZL7op_silufEEfEvPKT0_PS0_i: ; @_ZL15unary_op_kernelIXadL_ZL7op_silufEEfEvPKT0_PS0_i
; %bb.0:
	s_load_dword s0, s[4:5], 0x24
	s_load_dword s1, s[4:5], 0x10
	s_waitcnt lgkmcnt(0)
	s_and_b32 s0, s0, 0xffff
	s_mul_i32 s6, s6, s0
	v_add_u32_e32 v0, s6, v0
	v_cmp_gt_i32_e32 vcc, s1, v0
	s_and_saveexec_b64 s[0:1], vcc
	s_cbranch_execz .LBB15_2
; %bb.1:
	s_load_dwordx4 s[0:3], s[4:5], 0x0
	v_ashrrev_i32_e32 v1, 31, v0
	v_lshlrev_b64 v[0:1], 2, v[0:1]
	s_waitcnt lgkmcnt(0)
	v_mov_b32_e32 v3, s1
	v_add_co_u32_e32 v2, vcc, s0, v0
	v_addc_co_u32_e32 v3, vcc, v3, v1, vcc
	global_load_dword v2, v[2:3], off
	s_mov_b32 s0, 0xbfb8aa3b
	s_mov_b32 s1, 0xc2b17218
	s_waitcnt vmcnt(0)
	v_mul_f32_e32 v3, 0xbfb8aa3b, v2
	v_fma_f32 v4, v2, s0, -v3
	v_rndne_f32_e32 v5, v3
	v_fmac_f32_e32 v4, 0xb2a5705f, v2
	v_sub_f32_e32 v3, v3, v5
	v_add_f32_e32 v3, v3, v4
	v_cvt_i32_f32_e32 v5, v5
	v_exp_f32_e32 v3, v3
	s_mov_b32 s0, 0x42ce8ed0
	v_cmp_nlt_f32_e32 vcc, s0, v2
	v_mov_b32_e32 v4, 0x7f800000
	v_ldexp_f32 v3, v3, v5
	v_cndmask_b32_e32 v3, 0, v3, vcc
	v_cmp_ngt_f32_e32 vcc, s1, v2
	v_cndmask_b32_e32 v3, v4, v3, vcc
	v_add_f32_e32 v3, 1.0, v3
	v_div_scale_f32 v4, s[0:1], v3, v3, v2
	v_div_scale_f32 v5, vcc, v2, v3, v2
	v_rcp_f32_e32 v6, v4
	v_fma_f32 v7, -v4, v6, 1.0
	v_fmac_f32_e32 v6, v7, v6
	v_mul_f32_e32 v7, v5, v6
	v_fma_f32 v8, -v4, v7, v5
	v_fmac_f32_e32 v7, v8, v6
	v_fma_f32 v4, -v4, v7, v5
	v_div_fmas_f32 v4, v4, v6, v7
	v_mov_b32_e32 v5, s3
	v_add_co_u32_e32 v0, vcc, s2, v0
	v_addc_co_u32_e32 v1, vcc, v5, v1, vcc
	v_div_fixup_f32 v2, v4, v3, v2
	global_store_dword v[0:1], v2, off
.LBB15_2:
	s_endpgm
	.section	.rodata,"a",@progbits
	.p2align	6, 0x0
	.amdhsa_kernel _ZL15unary_op_kernelIXadL_ZL7op_silufEEfEvPKT0_PS0_i
		.amdhsa_group_segment_fixed_size 0
		.amdhsa_private_segment_fixed_size 0
		.amdhsa_kernarg_size 280
		.amdhsa_user_sgpr_count 6
		.amdhsa_user_sgpr_private_segment_buffer 1
		.amdhsa_user_sgpr_dispatch_ptr 0
		.amdhsa_user_sgpr_queue_ptr 0
		.amdhsa_user_sgpr_kernarg_segment_ptr 1
		.amdhsa_user_sgpr_dispatch_id 0
		.amdhsa_user_sgpr_flat_scratch_init 0
		.amdhsa_user_sgpr_private_segment_size 0
		.amdhsa_uses_dynamic_stack 0
		.amdhsa_system_sgpr_private_segment_wavefront_offset 0
		.amdhsa_system_sgpr_workgroup_id_x 1
		.amdhsa_system_sgpr_workgroup_id_y 0
		.amdhsa_system_sgpr_workgroup_id_z 0
		.amdhsa_system_sgpr_workgroup_info 0
		.amdhsa_system_vgpr_workitem_id 0
		.amdhsa_next_free_vgpr 9
		.amdhsa_next_free_sgpr 7
		.amdhsa_reserve_vcc 1
		.amdhsa_reserve_flat_scratch 0
		.amdhsa_float_round_mode_32 0
		.amdhsa_float_round_mode_16_64 0
		.amdhsa_float_denorm_mode_32 3
		.amdhsa_float_denorm_mode_16_64 3
		.amdhsa_dx10_clamp 1
		.amdhsa_ieee_mode 1
		.amdhsa_fp16_overflow 0
		.amdhsa_exception_fp_ieee_invalid_op 0
		.amdhsa_exception_fp_denorm_src 0
		.amdhsa_exception_fp_ieee_div_zero 0
		.amdhsa_exception_fp_ieee_overflow 0
		.amdhsa_exception_fp_ieee_underflow 0
		.amdhsa_exception_fp_ieee_inexact 0
		.amdhsa_exception_int_div_zero 0
	.end_amdhsa_kernel
	.section	.text._ZL15unary_op_kernelIXadL_ZL7op_silufEEfEvPKT0_PS0_i,"axG",@progbits,_ZL15unary_op_kernelIXadL_ZL7op_silufEEfEvPKT0_PS0_i,comdat
.Lfunc_end15:
	.size	_ZL15unary_op_kernelIXadL_ZL7op_silufEEfEvPKT0_PS0_i, .Lfunc_end15-_ZL15unary_op_kernelIXadL_ZL7op_silufEEfEvPKT0_PS0_i
                                        ; -- End function
	.set _ZL15unary_op_kernelIXadL_ZL7op_silufEEfEvPKT0_PS0_i.num_vgpr, 9
	.set _ZL15unary_op_kernelIXadL_ZL7op_silufEEfEvPKT0_PS0_i.num_agpr, 0
	.set _ZL15unary_op_kernelIXadL_ZL7op_silufEEfEvPKT0_PS0_i.numbered_sgpr, 7
	.set _ZL15unary_op_kernelIXadL_ZL7op_silufEEfEvPKT0_PS0_i.num_named_barrier, 0
	.set _ZL15unary_op_kernelIXadL_ZL7op_silufEEfEvPKT0_PS0_i.private_seg_size, 0
	.set _ZL15unary_op_kernelIXadL_ZL7op_silufEEfEvPKT0_PS0_i.uses_vcc, 1
	.set _ZL15unary_op_kernelIXadL_ZL7op_silufEEfEvPKT0_PS0_i.uses_flat_scratch, 0
	.set _ZL15unary_op_kernelIXadL_ZL7op_silufEEfEvPKT0_PS0_i.has_dyn_sized_stack, 0
	.set _ZL15unary_op_kernelIXadL_ZL7op_silufEEfEvPKT0_PS0_i.has_recursion, 0
	.set _ZL15unary_op_kernelIXadL_ZL7op_silufEEfEvPKT0_PS0_i.has_indirect_call, 0
	.section	.AMDGPU.csdata,"",@progbits
; Kernel info:
; codeLenInByte = 296
; TotalNumSgprs: 11
; NumVgprs: 9
; ScratchSize: 0
; MemoryBound: 0
; FloatMode: 240
; IeeeMode: 1
; LDSByteSize: 0 bytes/workgroup (compile time only)
; SGPRBlocks: 1
; VGPRBlocks: 2
; NumSGPRsForWavesPerEU: 11
; NumVGPRsForWavesPerEU: 9
; Occupancy: 10
; WaveLimiterHint : 0
; COMPUTE_PGM_RSRC2:SCRATCH_EN: 0
; COMPUTE_PGM_RSRC2:USER_SGPR: 6
; COMPUTE_PGM_RSRC2:TRAP_HANDLER: 0
; COMPUTE_PGM_RSRC2:TGID_X_EN: 1
; COMPUTE_PGM_RSRC2:TGID_Y_EN: 0
; COMPUTE_PGM_RSRC2:TGID_Z_EN: 0
; COMPUTE_PGM_RSRC2:TIDIG_COMP_CNT: 0
	.section	.text._ZL15unary_op_kernelIXadL_ZL7op_tanhfEE6__halfEvPKT0_PS1_i,"axG",@progbits,_ZL15unary_op_kernelIXadL_ZL7op_tanhfEE6__halfEvPKT0_PS1_i,comdat
	.globl	_ZL15unary_op_kernelIXadL_ZL7op_tanhfEE6__halfEvPKT0_PS1_i ; -- Begin function _ZL15unary_op_kernelIXadL_ZL7op_tanhfEE6__halfEvPKT0_PS1_i
	.p2align	8
	.type	_ZL15unary_op_kernelIXadL_ZL7op_tanhfEE6__halfEvPKT0_PS1_i,@function
_ZL15unary_op_kernelIXadL_ZL7op_tanhfEE6__halfEvPKT0_PS1_i: ; @_ZL15unary_op_kernelIXadL_ZL7op_tanhfEE6__halfEvPKT0_PS1_i
; %bb.0:
	s_load_dword s0, s[4:5], 0x24
	s_load_dword s1, s[4:5], 0x10
	s_waitcnt lgkmcnt(0)
	s_and_b32 s0, s0, 0xffff
	s_mul_i32 s6, s6, s0
	v_add_u32_e32 v0, s6, v0
	v_cmp_gt_i32_e32 vcc, s1, v0
	s_and_saveexec_b64 s[0:1], vcc
	s_cbranch_execz .LBB16_6
; %bb.1:
	s_load_dwordx4 s[0:3], s[4:5], 0x0
	v_ashrrev_i32_e32 v1, 31, v0
	v_lshlrev_b64 v[0:1], 1, v[0:1]
	s_waitcnt lgkmcnt(0)
	v_mov_b32_e32 v3, s1
	v_add_co_u32_e32 v2, vcc, s0, v0
	v_addc_co_u32_e32 v3, vcc, v3, v1, vcc
	global_load_ushort v2, v[2:3], off
	s_mov_b32 s0, 0x3f200000
                                        ; implicit-def: $vgpr3
	s_waitcnt vmcnt(0)
	v_cvt_f32_f16_e32 v2, v2
	v_cmp_nlt_f32_e64 s[0:1], |v2|, s0
	s_and_saveexec_b64 s[4:5], s[0:1]
	s_xor_b64 s[0:1], exec, s[4:5]
	s_cbranch_execz .LBB16_3
; %bb.2:
	v_add_f32_e64 v3, |v2|, |v2|
	v_mul_f32_e32 v4, 0x3fb8aa3b, v3
	s_mov_b32 s4, 0x3fb8aa3b
	v_rndne_f32_e32 v5, v4
	v_sub_f32_e32 v6, v4, v5
	v_fma_f32 v4, v3, s4, -v4
	v_fmac_f32_e32 v4, 0x32a5705f, v3
	v_add_f32_e32 v4, v6, v4
	v_exp_f32_e32 v4, v4
	v_cvt_i32_f32_e32 v5, v5
	s_mov_b32 s4, 0xc2ce8ed0
	v_cmp_ngt_f32_e32 vcc, s4, v3
	s_mov_b32 s4, 0x42b17218
	v_ldexp_f32 v4, v4, v5
	v_cndmask_b32_e32 v4, 0, v4, vcc
	v_mov_b32_e32 v5, 0x7f800000
	v_cmp_nlt_f32_e32 vcc, s4, v3
	v_cndmask_b32_e32 v3, v5, v4, vcc
	v_add_f32_e32 v3, 1.0, v3
	v_rcp_f32_e32 v3, v3
	v_fma_f32 v3, v3, -2.0, 1.0
.LBB16_3:
	s_andn2_saveexec_b64 s[0:1], s[0:1]
	s_cbranch_execz .LBB16_5
; %bb.4:
	v_mul_f32_e32 v3, v2, v2
	v_mov_b32_e32 v4, 0x3ca908c9
	v_fmac_f32_e32 v4, 0xbbbac73d, v3
	v_mov_b32_e32 v5, 0xbd5c1c4e
	v_fmac_f32_e32 v5, v3, v4
	;; [unrolled: 2-line block ×4, first 2 shown]
	v_mul_f32_e64 v4, |v2|, v5
	v_fma_f32 v3, v3, v4, |v2|
.LBB16_5:
	s_or_b64 exec, exec, s[0:1]
	v_cvt_f16_f32_e32 v3, v3
	v_lshrrev_b32_e32 v2, 16, v2
	s_movk_i32 s0, 0x7fff
	v_mov_b32_e32 v4, s3
	v_add_co_u32_e32 v0, vcc, s2, v0
	v_bfi_b32 v2, s0, v3, v2
	v_addc_co_u32_e32 v1, vcc, v4, v1, vcc
	global_store_short v[0:1], v2, off
.LBB16_6:
	s_endpgm
	.section	.rodata,"a",@progbits
	.p2align	6, 0x0
	.amdhsa_kernel _ZL15unary_op_kernelIXadL_ZL7op_tanhfEE6__halfEvPKT0_PS1_i
		.amdhsa_group_segment_fixed_size 0
		.amdhsa_private_segment_fixed_size 0
		.amdhsa_kernarg_size 280
		.amdhsa_user_sgpr_count 6
		.amdhsa_user_sgpr_private_segment_buffer 1
		.amdhsa_user_sgpr_dispatch_ptr 0
		.amdhsa_user_sgpr_queue_ptr 0
		.amdhsa_user_sgpr_kernarg_segment_ptr 1
		.amdhsa_user_sgpr_dispatch_id 0
		.amdhsa_user_sgpr_flat_scratch_init 0
		.amdhsa_user_sgpr_private_segment_size 0
		.amdhsa_uses_dynamic_stack 0
		.amdhsa_system_sgpr_private_segment_wavefront_offset 0
		.amdhsa_system_sgpr_workgroup_id_x 1
		.amdhsa_system_sgpr_workgroup_id_y 0
		.amdhsa_system_sgpr_workgroup_id_z 0
		.amdhsa_system_sgpr_workgroup_info 0
		.amdhsa_system_vgpr_workitem_id 0
		.amdhsa_next_free_vgpr 7
		.amdhsa_next_free_sgpr 7
		.amdhsa_reserve_vcc 1
		.amdhsa_reserve_flat_scratch 0
		.amdhsa_float_round_mode_32 0
		.amdhsa_float_round_mode_16_64 0
		.amdhsa_float_denorm_mode_32 3
		.amdhsa_float_denorm_mode_16_64 3
		.amdhsa_dx10_clamp 1
		.amdhsa_ieee_mode 1
		.amdhsa_fp16_overflow 0
		.amdhsa_exception_fp_ieee_invalid_op 0
		.amdhsa_exception_fp_denorm_src 0
		.amdhsa_exception_fp_ieee_div_zero 0
		.amdhsa_exception_fp_ieee_overflow 0
		.amdhsa_exception_fp_ieee_underflow 0
		.amdhsa_exception_fp_ieee_inexact 0
		.amdhsa_exception_int_div_zero 0
	.end_amdhsa_kernel
	.section	.text._ZL15unary_op_kernelIXadL_ZL7op_tanhfEE6__halfEvPKT0_PS1_i,"axG",@progbits,_ZL15unary_op_kernelIXadL_ZL7op_tanhfEE6__halfEvPKT0_PS1_i,comdat
.Lfunc_end16:
	.size	_ZL15unary_op_kernelIXadL_ZL7op_tanhfEE6__halfEvPKT0_PS1_i, .Lfunc_end16-_ZL15unary_op_kernelIXadL_ZL7op_tanhfEE6__halfEvPKT0_PS1_i
                                        ; -- End function
	.set _ZL15unary_op_kernelIXadL_ZL7op_tanhfEE6__halfEvPKT0_PS1_i.num_vgpr, 7
	.set _ZL15unary_op_kernelIXadL_ZL7op_tanhfEE6__halfEvPKT0_PS1_i.num_agpr, 0
	.set _ZL15unary_op_kernelIXadL_ZL7op_tanhfEE6__halfEvPKT0_PS1_i.numbered_sgpr, 7
	.set _ZL15unary_op_kernelIXadL_ZL7op_tanhfEE6__halfEvPKT0_PS1_i.num_named_barrier, 0
	.set _ZL15unary_op_kernelIXadL_ZL7op_tanhfEE6__halfEvPKT0_PS1_i.private_seg_size, 0
	.set _ZL15unary_op_kernelIXadL_ZL7op_tanhfEE6__halfEvPKT0_PS1_i.uses_vcc, 1
	.set _ZL15unary_op_kernelIXadL_ZL7op_tanhfEE6__halfEvPKT0_PS1_i.uses_flat_scratch, 0
	.set _ZL15unary_op_kernelIXadL_ZL7op_tanhfEE6__halfEvPKT0_PS1_i.has_dyn_sized_stack, 0
	.set _ZL15unary_op_kernelIXadL_ZL7op_tanhfEE6__halfEvPKT0_PS1_i.has_recursion, 0
	.set _ZL15unary_op_kernelIXadL_ZL7op_tanhfEE6__halfEvPKT0_PS1_i.has_indirect_call, 0
	.section	.AMDGPU.csdata,"",@progbits
; Kernel info:
; codeLenInByte = 380
; TotalNumSgprs: 11
; NumVgprs: 7
; ScratchSize: 0
; MemoryBound: 0
; FloatMode: 240
; IeeeMode: 1
; LDSByteSize: 0 bytes/workgroup (compile time only)
; SGPRBlocks: 1
; VGPRBlocks: 1
; NumSGPRsForWavesPerEU: 11
; NumVGPRsForWavesPerEU: 7
; Occupancy: 10
; WaveLimiterHint : 0
; COMPUTE_PGM_RSRC2:SCRATCH_EN: 0
; COMPUTE_PGM_RSRC2:USER_SGPR: 6
; COMPUTE_PGM_RSRC2:TRAP_HANDLER: 0
; COMPUTE_PGM_RSRC2:TGID_X_EN: 1
; COMPUTE_PGM_RSRC2:TGID_Y_EN: 0
; COMPUTE_PGM_RSRC2:TGID_Z_EN: 0
; COMPUTE_PGM_RSRC2:TIDIG_COMP_CNT: 0
	.section	.text._ZL15unary_op_kernelIXadL_ZL7op_tanhfEEfEvPKT0_PS0_i,"axG",@progbits,_ZL15unary_op_kernelIXadL_ZL7op_tanhfEEfEvPKT0_PS0_i,comdat
	.globl	_ZL15unary_op_kernelIXadL_ZL7op_tanhfEEfEvPKT0_PS0_i ; -- Begin function _ZL15unary_op_kernelIXadL_ZL7op_tanhfEEfEvPKT0_PS0_i
	.p2align	8
	.type	_ZL15unary_op_kernelIXadL_ZL7op_tanhfEEfEvPKT0_PS0_i,@function
_ZL15unary_op_kernelIXadL_ZL7op_tanhfEEfEvPKT0_PS0_i: ; @_ZL15unary_op_kernelIXadL_ZL7op_tanhfEEfEvPKT0_PS0_i
; %bb.0:
	s_load_dword s0, s[4:5], 0x24
	s_load_dword s1, s[4:5], 0x10
	s_waitcnt lgkmcnt(0)
	s_and_b32 s0, s0, 0xffff
	s_mul_i32 s6, s6, s0
	v_add_u32_e32 v0, s6, v0
	v_cmp_gt_i32_e32 vcc, s1, v0
	s_and_saveexec_b64 s[0:1], vcc
	s_cbranch_execz .LBB17_6
; %bb.1:
	s_load_dwordx4 s[0:3], s[4:5], 0x0
	v_ashrrev_i32_e32 v1, 31, v0
	v_lshlrev_b64 v[0:1], 2, v[0:1]
	s_waitcnt lgkmcnt(0)
	v_mov_b32_e32 v3, s1
	v_add_co_u32_e32 v2, vcc, s0, v0
	v_addc_co_u32_e32 v3, vcc, v3, v1, vcc
	global_load_dword v2, v[2:3], off
	s_mov_b32 s0, 0x3f200000
                                        ; implicit-def: $vgpr3
	s_waitcnt vmcnt(0)
	v_cmp_nlt_f32_e64 s[0:1], |v2|, s0
	s_and_saveexec_b64 s[4:5], s[0:1]
	s_xor_b64 s[0:1], exec, s[4:5]
	s_cbranch_execz .LBB17_3
; %bb.2:
	v_add_f32_e64 v3, |v2|, |v2|
	v_mul_f32_e32 v4, 0x3fb8aa3b, v3
	s_mov_b32 s4, 0x3fb8aa3b
	v_rndne_f32_e32 v5, v4
	v_sub_f32_e32 v6, v4, v5
	v_fma_f32 v4, v3, s4, -v4
	v_fmac_f32_e32 v4, 0x32a5705f, v3
	v_add_f32_e32 v4, v6, v4
	v_exp_f32_e32 v4, v4
	v_cvt_i32_f32_e32 v5, v5
	s_mov_b32 s4, 0xc2ce8ed0
	v_cmp_ngt_f32_e32 vcc, s4, v3
	s_mov_b32 s4, 0x42b17218
	v_ldexp_f32 v4, v4, v5
	v_cndmask_b32_e32 v4, 0, v4, vcc
	v_mov_b32_e32 v5, 0x7f800000
	v_cmp_nlt_f32_e32 vcc, s4, v3
	v_cndmask_b32_e32 v3, v5, v4, vcc
	v_add_f32_e32 v3, 1.0, v3
	v_rcp_f32_e32 v3, v3
	v_fma_f32 v3, v3, -2.0, 1.0
.LBB17_3:
	s_andn2_saveexec_b64 s[0:1], s[0:1]
	s_cbranch_execz .LBB17_5
; %bb.4:
	v_mul_f32_e32 v3, v2, v2
	v_mov_b32_e32 v4, 0x3ca908c9
	v_fmac_f32_e32 v4, 0xbbbac73d, v3
	v_mov_b32_e32 v5, 0xbd5c1c4e
	v_fmac_f32_e32 v5, v3, v4
	;; [unrolled: 2-line block ×4, first 2 shown]
	v_mul_f32_e64 v4, |v2|, v5
	v_fma_f32 v3, v3, v4, |v2|
.LBB17_5:
	s_or_b64 exec, exec, s[0:1]
	s_brev_b32 s0, -2
	v_bfi_b32 v2, s0, v3, v2
	v_mov_b32_e32 v3, s3
	v_add_co_u32_e32 v0, vcc, s2, v0
	v_addc_co_u32_e32 v1, vcc, v3, v1, vcc
	global_store_dword v[0:1], v2, off
.LBB17_6:
	s_endpgm
	.section	.rodata,"a",@progbits
	.p2align	6, 0x0
	.amdhsa_kernel _ZL15unary_op_kernelIXadL_ZL7op_tanhfEEfEvPKT0_PS0_i
		.amdhsa_group_segment_fixed_size 0
		.amdhsa_private_segment_fixed_size 0
		.amdhsa_kernarg_size 280
		.amdhsa_user_sgpr_count 6
		.amdhsa_user_sgpr_private_segment_buffer 1
		.amdhsa_user_sgpr_dispatch_ptr 0
		.amdhsa_user_sgpr_queue_ptr 0
		.amdhsa_user_sgpr_kernarg_segment_ptr 1
		.amdhsa_user_sgpr_dispatch_id 0
		.amdhsa_user_sgpr_flat_scratch_init 0
		.amdhsa_user_sgpr_private_segment_size 0
		.amdhsa_uses_dynamic_stack 0
		.amdhsa_system_sgpr_private_segment_wavefront_offset 0
		.amdhsa_system_sgpr_workgroup_id_x 1
		.amdhsa_system_sgpr_workgroup_id_y 0
		.amdhsa_system_sgpr_workgroup_id_z 0
		.amdhsa_system_sgpr_workgroup_info 0
		.amdhsa_system_vgpr_workitem_id 0
		.amdhsa_next_free_vgpr 7
		.amdhsa_next_free_sgpr 7
		.amdhsa_reserve_vcc 1
		.amdhsa_reserve_flat_scratch 0
		.amdhsa_float_round_mode_32 0
		.amdhsa_float_round_mode_16_64 0
		.amdhsa_float_denorm_mode_32 3
		.amdhsa_float_denorm_mode_16_64 3
		.amdhsa_dx10_clamp 1
		.amdhsa_ieee_mode 1
		.amdhsa_fp16_overflow 0
		.amdhsa_exception_fp_ieee_invalid_op 0
		.amdhsa_exception_fp_denorm_src 0
		.amdhsa_exception_fp_ieee_div_zero 0
		.amdhsa_exception_fp_ieee_overflow 0
		.amdhsa_exception_fp_ieee_underflow 0
		.amdhsa_exception_fp_ieee_inexact 0
		.amdhsa_exception_int_div_zero 0
	.end_amdhsa_kernel
	.section	.text._ZL15unary_op_kernelIXadL_ZL7op_tanhfEEfEvPKT0_PS0_i,"axG",@progbits,_ZL15unary_op_kernelIXadL_ZL7op_tanhfEEfEvPKT0_PS0_i,comdat
.Lfunc_end17:
	.size	_ZL15unary_op_kernelIXadL_ZL7op_tanhfEEfEvPKT0_PS0_i, .Lfunc_end17-_ZL15unary_op_kernelIXadL_ZL7op_tanhfEEfEvPKT0_PS0_i
                                        ; -- End function
	.set _ZL15unary_op_kernelIXadL_ZL7op_tanhfEEfEvPKT0_PS0_i.num_vgpr, 7
	.set _ZL15unary_op_kernelIXadL_ZL7op_tanhfEEfEvPKT0_PS0_i.num_agpr, 0
	.set _ZL15unary_op_kernelIXadL_ZL7op_tanhfEEfEvPKT0_PS0_i.numbered_sgpr, 7
	.set _ZL15unary_op_kernelIXadL_ZL7op_tanhfEEfEvPKT0_PS0_i.num_named_barrier, 0
	.set _ZL15unary_op_kernelIXadL_ZL7op_tanhfEEfEvPKT0_PS0_i.private_seg_size, 0
	.set _ZL15unary_op_kernelIXadL_ZL7op_tanhfEEfEvPKT0_PS0_i.uses_vcc, 1
	.set _ZL15unary_op_kernelIXadL_ZL7op_tanhfEEfEvPKT0_PS0_i.uses_flat_scratch, 0
	.set _ZL15unary_op_kernelIXadL_ZL7op_tanhfEEfEvPKT0_PS0_i.has_dyn_sized_stack, 0
	.set _ZL15unary_op_kernelIXadL_ZL7op_tanhfEEfEvPKT0_PS0_i.has_recursion, 0
	.set _ZL15unary_op_kernelIXadL_ZL7op_tanhfEEfEvPKT0_PS0_i.has_indirect_call, 0
	.section	.AMDGPU.csdata,"",@progbits
; Kernel info:
; codeLenInByte = 368
; TotalNumSgprs: 11
; NumVgprs: 7
; ScratchSize: 0
; MemoryBound: 0
; FloatMode: 240
; IeeeMode: 1
; LDSByteSize: 0 bytes/workgroup (compile time only)
; SGPRBlocks: 1
; VGPRBlocks: 1
; NumSGPRsForWavesPerEU: 11
; NumVGPRsForWavesPerEU: 7
; Occupancy: 10
; WaveLimiterHint : 0
; COMPUTE_PGM_RSRC2:SCRATCH_EN: 0
; COMPUTE_PGM_RSRC2:USER_SGPR: 6
; COMPUTE_PGM_RSRC2:TRAP_HANDLER: 0
; COMPUTE_PGM_RSRC2:TGID_X_EN: 1
; COMPUTE_PGM_RSRC2:TGID_Y_EN: 0
; COMPUTE_PGM_RSRC2:TGID_Z_EN: 0
; COMPUTE_PGM_RSRC2:TIDIG_COMP_CNT: 0
	.section	.text._ZL15unary_op_kernelIXadL_ZL7op_relufEE6__halfEvPKT0_PS1_i,"axG",@progbits,_ZL15unary_op_kernelIXadL_ZL7op_relufEE6__halfEvPKT0_PS1_i,comdat
	.globl	_ZL15unary_op_kernelIXadL_ZL7op_relufEE6__halfEvPKT0_PS1_i ; -- Begin function _ZL15unary_op_kernelIXadL_ZL7op_relufEE6__halfEvPKT0_PS1_i
	.p2align	8
	.type	_ZL15unary_op_kernelIXadL_ZL7op_relufEE6__halfEvPKT0_PS1_i,@function
_ZL15unary_op_kernelIXadL_ZL7op_relufEE6__halfEvPKT0_PS1_i: ; @_ZL15unary_op_kernelIXadL_ZL7op_relufEE6__halfEvPKT0_PS1_i
; %bb.0:
	s_load_dword s0, s[4:5], 0x24
	s_load_dword s1, s[4:5], 0x10
	s_waitcnt lgkmcnt(0)
	s_and_b32 s0, s0, 0xffff
	s_mul_i32 s6, s6, s0
	v_add_u32_e32 v0, s6, v0
	v_cmp_gt_i32_e32 vcc, s1, v0
	s_and_saveexec_b64 s[0:1], vcc
	s_cbranch_execz .LBB18_2
; %bb.1:
	s_load_dwordx4 s[0:3], s[4:5], 0x0
	v_ashrrev_i32_e32 v1, 31, v0
	v_lshlrev_b64 v[0:1], 1, v[0:1]
	s_waitcnt lgkmcnt(0)
	v_mov_b32_e32 v3, s1
	v_add_co_u32_e32 v2, vcc, s0, v0
	v_addc_co_u32_e32 v3, vcc, v3, v1, vcc
	global_load_ushort v2, v[2:3], off
	v_mov_b32_e32 v3, s3
	v_add_co_u32_e32 v0, vcc, s2, v0
	v_addc_co_u32_e32 v1, vcc, v3, v1, vcc
	s_waitcnt vmcnt(0)
	v_cvt_f32_f16_e32 v2, v2
	v_max_f32_e32 v2, 0, v2
	v_cvt_f16_f32_e32 v2, v2
	global_store_short v[0:1], v2, off
.LBB18_2:
	s_endpgm
	.section	.rodata,"a",@progbits
	.p2align	6, 0x0
	.amdhsa_kernel _ZL15unary_op_kernelIXadL_ZL7op_relufEE6__halfEvPKT0_PS1_i
		.amdhsa_group_segment_fixed_size 0
		.amdhsa_private_segment_fixed_size 0
		.amdhsa_kernarg_size 280
		.amdhsa_user_sgpr_count 6
		.amdhsa_user_sgpr_private_segment_buffer 1
		.amdhsa_user_sgpr_dispatch_ptr 0
		.amdhsa_user_sgpr_queue_ptr 0
		.amdhsa_user_sgpr_kernarg_segment_ptr 1
		.amdhsa_user_sgpr_dispatch_id 0
		.amdhsa_user_sgpr_flat_scratch_init 0
		.amdhsa_user_sgpr_private_segment_size 0
		.amdhsa_uses_dynamic_stack 0
		.amdhsa_system_sgpr_private_segment_wavefront_offset 0
		.amdhsa_system_sgpr_workgroup_id_x 1
		.amdhsa_system_sgpr_workgroup_id_y 0
		.amdhsa_system_sgpr_workgroup_id_z 0
		.amdhsa_system_sgpr_workgroup_info 0
		.amdhsa_system_vgpr_workitem_id 0
		.amdhsa_next_free_vgpr 4
		.amdhsa_next_free_sgpr 7
		.amdhsa_reserve_vcc 1
		.amdhsa_reserve_flat_scratch 0
		.amdhsa_float_round_mode_32 0
		.amdhsa_float_round_mode_16_64 0
		.amdhsa_float_denorm_mode_32 3
		.amdhsa_float_denorm_mode_16_64 3
		.amdhsa_dx10_clamp 1
		.amdhsa_ieee_mode 1
		.amdhsa_fp16_overflow 0
		.amdhsa_exception_fp_ieee_invalid_op 0
		.amdhsa_exception_fp_denorm_src 0
		.amdhsa_exception_fp_ieee_div_zero 0
		.amdhsa_exception_fp_ieee_overflow 0
		.amdhsa_exception_fp_ieee_underflow 0
		.amdhsa_exception_fp_ieee_inexact 0
		.amdhsa_exception_int_div_zero 0
	.end_amdhsa_kernel
	.section	.text._ZL15unary_op_kernelIXadL_ZL7op_relufEE6__halfEvPKT0_PS1_i,"axG",@progbits,_ZL15unary_op_kernelIXadL_ZL7op_relufEE6__halfEvPKT0_PS1_i,comdat
.Lfunc_end18:
	.size	_ZL15unary_op_kernelIXadL_ZL7op_relufEE6__halfEvPKT0_PS1_i, .Lfunc_end18-_ZL15unary_op_kernelIXadL_ZL7op_relufEE6__halfEvPKT0_PS1_i
                                        ; -- End function
	.set _ZL15unary_op_kernelIXadL_ZL7op_relufEE6__halfEvPKT0_PS1_i.num_vgpr, 4
	.set _ZL15unary_op_kernelIXadL_ZL7op_relufEE6__halfEvPKT0_PS1_i.num_agpr, 0
	.set _ZL15unary_op_kernelIXadL_ZL7op_relufEE6__halfEvPKT0_PS1_i.numbered_sgpr, 7
	.set _ZL15unary_op_kernelIXadL_ZL7op_relufEE6__halfEvPKT0_PS1_i.num_named_barrier, 0
	.set _ZL15unary_op_kernelIXadL_ZL7op_relufEE6__halfEvPKT0_PS1_i.private_seg_size, 0
	.set _ZL15unary_op_kernelIXadL_ZL7op_relufEE6__halfEvPKT0_PS1_i.uses_vcc, 1
	.set _ZL15unary_op_kernelIXadL_ZL7op_relufEE6__halfEvPKT0_PS1_i.uses_flat_scratch, 0
	.set _ZL15unary_op_kernelIXadL_ZL7op_relufEE6__halfEvPKT0_PS1_i.has_dyn_sized_stack, 0
	.set _ZL15unary_op_kernelIXadL_ZL7op_relufEE6__halfEvPKT0_PS1_i.has_recursion, 0
	.set _ZL15unary_op_kernelIXadL_ZL7op_relufEE6__halfEvPKT0_PS1_i.has_indirect_call, 0
	.section	.AMDGPU.csdata,"",@progbits
; Kernel info:
; codeLenInByte = 132
; TotalNumSgprs: 11
; NumVgprs: 4
; ScratchSize: 0
; MemoryBound: 0
; FloatMode: 240
; IeeeMode: 1
; LDSByteSize: 0 bytes/workgroup (compile time only)
; SGPRBlocks: 1
; VGPRBlocks: 0
; NumSGPRsForWavesPerEU: 11
; NumVGPRsForWavesPerEU: 4
; Occupancy: 10
; WaveLimiterHint : 0
; COMPUTE_PGM_RSRC2:SCRATCH_EN: 0
; COMPUTE_PGM_RSRC2:USER_SGPR: 6
; COMPUTE_PGM_RSRC2:TRAP_HANDLER: 0
; COMPUTE_PGM_RSRC2:TGID_X_EN: 1
; COMPUTE_PGM_RSRC2:TGID_Y_EN: 0
; COMPUTE_PGM_RSRC2:TGID_Z_EN: 0
; COMPUTE_PGM_RSRC2:TIDIG_COMP_CNT: 0
	.section	.text._ZL15unary_op_kernelIXadL_ZL7op_relufEEfEvPKT0_PS0_i,"axG",@progbits,_ZL15unary_op_kernelIXadL_ZL7op_relufEEfEvPKT0_PS0_i,comdat
	.globl	_ZL15unary_op_kernelIXadL_ZL7op_relufEEfEvPKT0_PS0_i ; -- Begin function _ZL15unary_op_kernelIXadL_ZL7op_relufEEfEvPKT0_PS0_i
	.p2align	8
	.type	_ZL15unary_op_kernelIXadL_ZL7op_relufEEfEvPKT0_PS0_i,@function
_ZL15unary_op_kernelIXadL_ZL7op_relufEEfEvPKT0_PS0_i: ; @_ZL15unary_op_kernelIXadL_ZL7op_relufEEfEvPKT0_PS0_i
; %bb.0:
	s_load_dword s0, s[4:5], 0x24
	s_load_dword s1, s[4:5], 0x10
	s_waitcnt lgkmcnt(0)
	s_and_b32 s0, s0, 0xffff
	s_mul_i32 s6, s6, s0
	v_add_u32_e32 v0, s6, v0
	v_cmp_gt_i32_e32 vcc, s1, v0
	s_and_saveexec_b64 s[0:1], vcc
	s_cbranch_execz .LBB19_2
; %bb.1:
	s_load_dwordx4 s[0:3], s[4:5], 0x0
	v_ashrrev_i32_e32 v1, 31, v0
	v_lshlrev_b64 v[0:1], 2, v[0:1]
	s_waitcnt lgkmcnt(0)
	v_mov_b32_e32 v3, s1
	v_add_co_u32_e32 v2, vcc, s0, v0
	v_addc_co_u32_e32 v3, vcc, v3, v1, vcc
	global_load_dword v2, v[2:3], off
	v_mov_b32_e32 v3, s3
	v_add_co_u32_e32 v0, vcc, s2, v0
	v_addc_co_u32_e32 v1, vcc, v3, v1, vcc
	s_waitcnt vmcnt(0)
	v_max_f32_e32 v2, v2, v2
	v_max_f32_e32 v2, 0, v2
	global_store_dword v[0:1], v2, off
.LBB19_2:
	s_endpgm
	.section	.rodata,"a",@progbits
	.p2align	6, 0x0
	.amdhsa_kernel _ZL15unary_op_kernelIXadL_ZL7op_relufEEfEvPKT0_PS0_i
		.amdhsa_group_segment_fixed_size 0
		.amdhsa_private_segment_fixed_size 0
		.amdhsa_kernarg_size 280
		.amdhsa_user_sgpr_count 6
		.amdhsa_user_sgpr_private_segment_buffer 1
		.amdhsa_user_sgpr_dispatch_ptr 0
		.amdhsa_user_sgpr_queue_ptr 0
		.amdhsa_user_sgpr_kernarg_segment_ptr 1
		.amdhsa_user_sgpr_dispatch_id 0
		.amdhsa_user_sgpr_flat_scratch_init 0
		.amdhsa_user_sgpr_private_segment_size 0
		.amdhsa_uses_dynamic_stack 0
		.amdhsa_system_sgpr_private_segment_wavefront_offset 0
		.amdhsa_system_sgpr_workgroup_id_x 1
		.amdhsa_system_sgpr_workgroup_id_y 0
		.amdhsa_system_sgpr_workgroup_id_z 0
		.amdhsa_system_sgpr_workgroup_info 0
		.amdhsa_system_vgpr_workitem_id 0
		.amdhsa_next_free_vgpr 4
		.amdhsa_next_free_sgpr 7
		.amdhsa_reserve_vcc 1
		.amdhsa_reserve_flat_scratch 0
		.amdhsa_float_round_mode_32 0
		.amdhsa_float_round_mode_16_64 0
		.amdhsa_float_denorm_mode_32 3
		.amdhsa_float_denorm_mode_16_64 3
		.amdhsa_dx10_clamp 1
		.amdhsa_ieee_mode 1
		.amdhsa_fp16_overflow 0
		.amdhsa_exception_fp_ieee_invalid_op 0
		.amdhsa_exception_fp_denorm_src 0
		.amdhsa_exception_fp_ieee_div_zero 0
		.amdhsa_exception_fp_ieee_overflow 0
		.amdhsa_exception_fp_ieee_underflow 0
		.amdhsa_exception_fp_ieee_inexact 0
		.amdhsa_exception_int_div_zero 0
	.end_amdhsa_kernel
	.section	.text._ZL15unary_op_kernelIXadL_ZL7op_relufEEfEvPKT0_PS0_i,"axG",@progbits,_ZL15unary_op_kernelIXadL_ZL7op_relufEEfEvPKT0_PS0_i,comdat
.Lfunc_end19:
	.size	_ZL15unary_op_kernelIXadL_ZL7op_relufEEfEvPKT0_PS0_i, .Lfunc_end19-_ZL15unary_op_kernelIXadL_ZL7op_relufEEfEvPKT0_PS0_i
                                        ; -- End function
	.set _ZL15unary_op_kernelIXadL_ZL7op_relufEEfEvPKT0_PS0_i.num_vgpr, 4
	.set _ZL15unary_op_kernelIXadL_ZL7op_relufEEfEvPKT0_PS0_i.num_agpr, 0
	.set _ZL15unary_op_kernelIXadL_ZL7op_relufEEfEvPKT0_PS0_i.numbered_sgpr, 7
	.set _ZL15unary_op_kernelIXadL_ZL7op_relufEEfEvPKT0_PS0_i.num_named_barrier, 0
	.set _ZL15unary_op_kernelIXadL_ZL7op_relufEEfEvPKT0_PS0_i.private_seg_size, 0
	.set _ZL15unary_op_kernelIXadL_ZL7op_relufEEfEvPKT0_PS0_i.uses_vcc, 1
	.set _ZL15unary_op_kernelIXadL_ZL7op_relufEEfEvPKT0_PS0_i.uses_flat_scratch, 0
	.set _ZL15unary_op_kernelIXadL_ZL7op_relufEEfEvPKT0_PS0_i.has_dyn_sized_stack, 0
	.set _ZL15unary_op_kernelIXadL_ZL7op_relufEEfEvPKT0_PS0_i.has_recursion, 0
	.set _ZL15unary_op_kernelIXadL_ZL7op_relufEEfEvPKT0_PS0_i.has_indirect_call, 0
	.section	.AMDGPU.csdata,"",@progbits
; Kernel info:
; codeLenInByte = 128
; TotalNumSgprs: 11
; NumVgprs: 4
; ScratchSize: 0
; MemoryBound: 0
; FloatMode: 240
; IeeeMode: 1
; LDSByteSize: 0 bytes/workgroup (compile time only)
; SGPRBlocks: 1
; VGPRBlocks: 0
; NumSGPRsForWavesPerEU: 11
; NumVGPRsForWavesPerEU: 4
; Occupancy: 10
; WaveLimiterHint : 0
; COMPUTE_PGM_RSRC2:SCRATCH_EN: 0
; COMPUTE_PGM_RSRC2:USER_SGPR: 6
; COMPUTE_PGM_RSRC2:TRAP_HANDLER: 0
; COMPUTE_PGM_RSRC2:TGID_X_EN: 1
; COMPUTE_PGM_RSRC2:TGID_Y_EN: 0
; COMPUTE_PGM_RSRC2:TGID_Z_EN: 0
; COMPUTE_PGM_RSRC2:TIDIG_COMP_CNT: 0
	.section	.text._ZL15unary_op_kernelIXadL_ZL10op_sigmoidfEE6__halfEvPKT0_PS1_i,"axG",@progbits,_ZL15unary_op_kernelIXadL_ZL10op_sigmoidfEE6__halfEvPKT0_PS1_i,comdat
	.globl	_ZL15unary_op_kernelIXadL_ZL10op_sigmoidfEE6__halfEvPKT0_PS1_i ; -- Begin function _ZL15unary_op_kernelIXadL_ZL10op_sigmoidfEE6__halfEvPKT0_PS1_i
	.p2align	8
	.type	_ZL15unary_op_kernelIXadL_ZL10op_sigmoidfEE6__halfEvPKT0_PS1_i,@function
_ZL15unary_op_kernelIXadL_ZL10op_sigmoidfEE6__halfEvPKT0_PS1_i: ; @_ZL15unary_op_kernelIXadL_ZL10op_sigmoidfEE6__halfEvPKT0_PS1_i
; %bb.0:
	s_load_dword s0, s[4:5], 0x24
	s_load_dword s1, s[4:5], 0x10
	s_waitcnt lgkmcnt(0)
	s_and_b32 s0, s0, 0xffff
	s_mul_i32 s6, s6, s0
	v_add_u32_e32 v0, s6, v0
	v_cmp_gt_i32_e32 vcc, s1, v0
	s_and_saveexec_b64 s[0:1], vcc
	s_cbranch_execz .LBB20_2
; %bb.1:
	s_load_dwordx4 s[0:3], s[4:5], 0x0
	v_ashrrev_i32_e32 v1, 31, v0
	v_lshlrev_b64 v[0:1], 1, v[0:1]
	s_waitcnt lgkmcnt(0)
	v_mov_b32_e32 v3, s1
	v_add_co_u32_e32 v2, vcc, s0, v0
	v_addc_co_u32_e32 v3, vcc, v3, v1, vcc
	global_load_ushort v2, v[2:3], off
	s_mov_b32 s0, 0x3fb8aa3b
	s_mov_b32 s1, 0x32a5705f
	s_waitcnt vmcnt(0)
	v_cvt_f32_f16_e64 v3, -v2
	v_mul_f32_e32 v4, 0x3fb8aa3b, v3
	v_fma_mix_f32 v5, -v2, s0, -v4 op_sel_hi:[1,0,0]
	v_rndne_f32_e32 v6, v4
	v_fma_mix_f32 v2, -v2, s1, v5 op_sel_hi:[1,0,0]
	v_sub_f32_e32 v4, v4, v6
	v_add_f32_e32 v2, v4, v2
	v_cvt_i32_f32_e32 v5, v6
	v_exp_f32_e32 v2, v2
	s_mov_b32 s0, 0xc2ce8ed0
	s_mov_b32 s1, 0x42b17218
	v_cmp_ngt_f32_e32 vcc, s0, v3
	v_ldexp_f32 v2, v2, v5
	v_mov_b32_e32 v4, 0x7f800000
	v_cndmask_b32_e32 v2, 0, v2, vcc
	v_cmp_nlt_f32_e32 vcc, s1, v3
	v_cndmask_b32_e32 v2, v4, v2, vcc
	v_add_f32_e32 v2, 1.0, v2
	v_div_scale_f32 v3, s[0:1], v2, v2, 1.0
	v_div_scale_f32 v4, vcc, 1.0, v2, 1.0
	v_rcp_f32_e32 v5, v3
	v_fma_f32 v6, -v3, v5, 1.0
	v_fmac_f32_e32 v5, v6, v5
	v_mul_f32_e32 v6, v4, v5
	v_fma_f32 v7, -v3, v6, v4
	v_fmac_f32_e32 v6, v7, v5
	v_fma_f32 v3, -v3, v6, v4
	v_div_fmas_f32 v3, v3, v5, v6
	v_mov_b32_e32 v4, s3
	v_add_co_u32_e32 v0, vcc, s2, v0
	v_addc_co_u32_e32 v1, vcc, v4, v1, vcc
	v_div_fixup_f32 v2, v3, v2, 1.0
	v_cvt_f16_f32_e32 v2, v2
	global_store_short v[0:1], v2, off
.LBB20_2:
	s_endpgm
	.section	.rodata,"a",@progbits
	.p2align	6, 0x0
	.amdhsa_kernel _ZL15unary_op_kernelIXadL_ZL10op_sigmoidfEE6__halfEvPKT0_PS1_i
		.amdhsa_group_segment_fixed_size 0
		.amdhsa_private_segment_fixed_size 0
		.amdhsa_kernarg_size 280
		.amdhsa_user_sgpr_count 6
		.amdhsa_user_sgpr_private_segment_buffer 1
		.amdhsa_user_sgpr_dispatch_ptr 0
		.amdhsa_user_sgpr_queue_ptr 0
		.amdhsa_user_sgpr_kernarg_segment_ptr 1
		.amdhsa_user_sgpr_dispatch_id 0
		.amdhsa_user_sgpr_flat_scratch_init 0
		.amdhsa_user_sgpr_private_segment_size 0
		.amdhsa_uses_dynamic_stack 0
		.amdhsa_system_sgpr_private_segment_wavefront_offset 0
		.amdhsa_system_sgpr_workgroup_id_x 1
		.amdhsa_system_sgpr_workgroup_id_y 0
		.amdhsa_system_sgpr_workgroup_id_z 0
		.amdhsa_system_sgpr_workgroup_info 0
		.amdhsa_system_vgpr_workitem_id 0
		.amdhsa_next_free_vgpr 8
		.amdhsa_next_free_sgpr 7
		.amdhsa_reserve_vcc 1
		.amdhsa_reserve_flat_scratch 0
		.amdhsa_float_round_mode_32 0
		.amdhsa_float_round_mode_16_64 0
		.amdhsa_float_denorm_mode_32 3
		.amdhsa_float_denorm_mode_16_64 3
		.amdhsa_dx10_clamp 1
		.amdhsa_ieee_mode 1
		.amdhsa_fp16_overflow 0
		.amdhsa_exception_fp_ieee_invalid_op 0
		.amdhsa_exception_fp_denorm_src 0
		.amdhsa_exception_fp_ieee_div_zero 0
		.amdhsa_exception_fp_ieee_overflow 0
		.amdhsa_exception_fp_ieee_underflow 0
		.amdhsa_exception_fp_ieee_inexact 0
		.amdhsa_exception_int_div_zero 0
	.end_amdhsa_kernel
	.section	.text._ZL15unary_op_kernelIXadL_ZL10op_sigmoidfEE6__halfEvPKT0_PS1_i,"axG",@progbits,_ZL15unary_op_kernelIXadL_ZL10op_sigmoidfEE6__halfEvPKT0_PS1_i,comdat
.Lfunc_end20:
	.size	_ZL15unary_op_kernelIXadL_ZL10op_sigmoidfEE6__halfEvPKT0_PS1_i, .Lfunc_end20-_ZL15unary_op_kernelIXadL_ZL10op_sigmoidfEE6__halfEvPKT0_PS1_i
                                        ; -- End function
	.set _ZL15unary_op_kernelIXadL_ZL10op_sigmoidfEE6__halfEvPKT0_PS1_i.num_vgpr, 8
	.set _ZL15unary_op_kernelIXadL_ZL10op_sigmoidfEE6__halfEvPKT0_PS1_i.num_agpr, 0
	.set _ZL15unary_op_kernelIXadL_ZL10op_sigmoidfEE6__halfEvPKT0_PS1_i.numbered_sgpr, 7
	.set _ZL15unary_op_kernelIXadL_ZL10op_sigmoidfEE6__halfEvPKT0_PS1_i.num_named_barrier, 0
	.set _ZL15unary_op_kernelIXadL_ZL10op_sigmoidfEE6__halfEvPKT0_PS1_i.private_seg_size, 0
	.set _ZL15unary_op_kernelIXadL_ZL10op_sigmoidfEE6__halfEvPKT0_PS1_i.uses_vcc, 1
	.set _ZL15unary_op_kernelIXadL_ZL10op_sigmoidfEE6__halfEvPKT0_PS1_i.uses_flat_scratch, 0
	.set _ZL15unary_op_kernelIXadL_ZL10op_sigmoidfEE6__halfEvPKT0_PS1_i.has_dyn_sized_stack, 0
	.set _ZL15unary_op_kernelIXadL_ZL10op_sigmoidfEE6__halfEvPKT0_PS1_i.has_recursion, 0
	.set _ZL15unary_op_kernelIXadL_ZL10op_sigmoidfEE6__halfEvPKT0_PS1_i.has_indirect_call, 0
	.section	.AMDGPU.csdata,"",@progbits
; Kernel info:
; codeLenInByte = 316
; TotalNumSgprs: 11
; NumVgprs: 8
; ScratchSize: 0
; MemoryBound: 0
; FloatMode: 240
; IeeeMode: 1
; LDSByteSize: 0 bytes/workgroup (compile time only)
; SGPRBlocks: 1
; VGPRBlocks: 1
; NumSGPRsForWavesPerEU: 11
; NumVGPRsForWavesPerEU: 8
; Occupancy: 10
; WaveLimiterHint : 0
; COMPUTE_PGM_RSRC2:SCRATCH_EN: 0
; COMPUTE_PGM_RSRC2:USER_SGPR: 6
; COMPUTE_PGM_RSRC2:TRAP_HANDLER: 0
; COMPUTE_PGM_RSRC2:TGID_X_EN: 1
; COMPUTE_PGM_RSRC2:TGID_Y_EN: 0
; COMPUTE_PGM_RSRC2:TGID_Z_EN: 0
; COMPUTE_PGM_RSRC2:TIDIG_COMP_CNT: 0
	.section	.text._ZL15unary_op_kernelIXadL_ZL10op_sigmoidfEEfEvPKT0_PS0_i,"axG",@progbits,_ZL15unary_op_kernelIXadL_ZL10op_sigmoidfEEfEvPKT0_PS0_i,comdat
	.globl	_ZL15unary_op_kernelIXadL_ZL10op_sigmoidfEEfEvPKT0_PS0_i ; -- Begin function _ZL15unary_op_kernelIXadL_ZL10op_sigmoidfEEfEvPKT0_PS0_i
	.p2align	8
	.type	_ZL15unary_op_kernelIXadL_ZL10op_sigmoidfEEfEvPKT0_PS0_i,@function
_ZL15unary_op_kernelIXadL_ZL10op_sigmoidfEEfEvPKT0_PS0_i: ; @_ZL15unary_op_kernelIXadL_ZL10op_sigmoidfEEfEvPKT0_PS0_i
; %bb.0:
	s_load_dword s0, s[4:5], 0x24
	s_load_dword s1, s[4:5], 0x10
	s_waitcnt lgkmcnt(0)
	s_and_b32 s0, s0, 0xffff
	s_mul_i32 s6, s6, s0
	v_add_u32_e32 v0, s6, v0
	v_cmp_gt_i32_e32 vcc, s1, v0
	s_and_saveexec_b64 s[0:1], vcc
	s_cbranch_execz .LBB21_2
; %bb.1:
	s_load_dwordx4 s[0:3], s[4:5], 0x0
	v_ashrrev_i32_e32 v1, 31, v0
	v_lshlrev_b64 v[0:1], 2, v[0:1]
	s_waitcnt lgkmcnt(0)
	v_mov_b32_e32 v3, s1
	v_add_co_u32_e32 v2, vcc, s0, v0
	v_addc_co_u32_e32 v3, vcc, v3, v1, vcc
	global_load_dword v2, v[2:3], off
	s_mov_b32 s0, 0xbfb8aa3b
	s_mov_b32 s1, 0xc2b17218
	s_waitcnt vmcnt(0)
	v_mul_f32_e32 v3, 0xbfb8aa3b, v2
	v_fma_f32 v4, v2, s0, -v3
	v_rndne_f32_e32 v5, v3
	v_fmac_f32_e32 v4, 0xb2a5705f, v2
	v_sub_f32_e32 v3, v3, v5
	v_add_f32_e32 v3, v3, v4
	v_cvt_i32_f32_e32 v5, v5
	v_exp_f32_e32 v3, v3
	s_mov_b32 s0, 0x42ce8ed0
	v_cmp_nlt_f32_e32 vcc, s0, v2
	v_mov_b32_e32 v4, 0x7f800000
	v_ldexp_f32 v3, v3, v5
	v_cndmask_b32_e32 v3, 0, v3, vcc
	v_cmp_ngt_f32_e32 vcc, s1, v2
	v_cndmask_b32_e32 v2, v4, v3, vcc
	v_add_f32_e32 v2, 1.0, v2
	v_div_scale_f32 v3, s[0:1], v2, v2, 1.0
	v_div_scale_f32 v4, vcc, 1.0, v2, 1.0
	v_rcp_f32_e32 v5, v3
	v_fma_f32 v6, -v3, v5, 1.0
	v_fmac_f32_e32 v5, v6, v5
	v_mul_f32_e32 v6, v4, v5
	v_fma_f32 v7, -v3, v6, v4
	v_fmac_f32_e32 v6, v7, v5
	v_fma_f32 v3, -v3, v6, v4
	v_div_fmas_f32 v3, v3, v5, v6
	v_mov_b32_e32 v4, s3
	v_add_co_u32_e32 v0, vcc, s2, v0
	v_addc_co_u32_e32 v1, vcc, v4, v1, vcc
	v_div_fixup_f32 v2, v3, v2, 1.0
	global_store_dword v[0:1], v2, off
.LBB21_2:
	s_endpgm
	.section	.rodata,"a",@progbits
	.p2align	6, 0x0
	.amdhsa_kernel _ZL15unary_op_kernelIXadL_ZL10op_sigmoidfEEfEvPKT0_PS0_i
		.amdhsa_group_segment_fixed_size 0
		.amdhsa_private_segment_fixed_size 0
		.amdhsa_kernarg_size 280
		.amdhsa_user_sgpr_count 6
		.amdhsa_user_sgpr_private_segment_buffer 1
		.amdhsa_user_sgpr_dispatch_ptr 0
		.amdhsa_user_sgpr_queue_ptr 0
		.amdhsa_user_sgpr_kernarg_segment_ptr 1
		.amdhsa_user_sgpr_dispatch_id 0
		.amdhsa_user_sgpr_flat_scratch_init 0
		.amdhsa_user_sgpr_private_segment_size 0
		.amdhsa_uses_dynamic_stack 0
		.amdhsa_system_sgpr_private_segment_wavefront_offset 0
		.amdhsa_system_sgpr_workgroup_id_x 1
		.amdhsa_system_sgpr_workgroup_id_y 0
		.amdhsa_system_sgpr_workgroup_id_z 0
		.amdhsa_system_sgpr_workgroup_info 0
		.amdhsa_system_vgpr_workitem_id 0
		.amdhsa_next_free_vgpr 8
		.amdhsa_next_free_sgpr 7
		.amdhsa_reserve_vcc 1
		.amdhsa_reserve_flat_scratch 0
		.amdhsa_float_round_mode_32 0
		.amdhsa_float_round_mode_16_64 0
		.amdhsa_float_denorm_mode_32 3
		.amdhsa_float_denorm_mode_16_64 3
		.amdhsa_dx10_clamp 1
		.amdhsa_ieee_mode 1
		.amdhsa_fp16_overflow 0
		.amdhsa_exception_fp_ieee_invalid_op 0
		.amdhsa_exception_fp_denorm_src 0
		.amdhsa_exception_fp_ieee_div_zero 0
		.amdhsa_exception_fp_ieee_overflow 0
		.amdhsa_exception_fp_ieee_underflow 0
		.amdhsa_exception_fp_ieee_inexact 0
		.amdhsa_exception_int_div_zero 0
	.end_amdhsa_kernel
	.section	.text._ZL15unary_op_kernelIXadL_ZL10op_sigmoidfEEfEvPKT0_PS0_i,"axG",@progbits,_ZL15unary_op_kernelIXadL_ZL10op_sigmoidfEEfEvPKT0_PS0_i,comdat
.Lfunc_end21:
	.size	_ZL15unary_op_kernelIXadL_ZL10op_sigmoidfEEfEvPKT0_PS0_i, .Lfunc_end21-_ZL15unary_op_kernelIXadL_ZL10op_sigmoidfEEfEvPKT0_PS0_i
                                        ; -- End function
	.set _ZL15unary_op_kernelIXadL_ZL10op_sigmoidfEEfEvPKT0_PS0_i.num_vgpr, 8
	.set _ZL15unary_op_kernelIXadL_ZL10op_sigmoidfEEfEvPKT0_PS0_i.num_agpr, 0
	.set _ZL15unary_op_kernelIXadL_ZL10op_sigmoidfEEfEvPKT0_PS0_i.numbered_sgpr, 7
	.set _ZL15unary_op_kernelIXadL_ZL10op_sigmoidfEEfEvPKT0_PS0_i.num_named_barrier, 0
	.set _ZL15unary_op_kernelIXadL_ZL10op_sigmoidfEEfEvPKT0_PS0_i.private_seg_size, 0
	.set _ZL15unary_op_kernelIXadL_ZL10op_sigmoidfEEfEvPKT0_PS0_i.uses_vcc, 1
	.set _ZL15unary_op_kernelIXadL_ZL10op_sigmoidfEEfEvPKT0_PS0_i.uses_flat_scratch, 0
	.set _ZL15unary_op_kernelIXadL_ZL10op_sigmoidfEEfEvPKT0_PS0_i.has_dyn_sized_stack, 0
	.set _ZL15unary_op_kernelIXadL_ZL10op_sigmoidfEEfEvPKT0_PS0_i.has_recursion, 0
	.set _ZL15unary_op_kernelIXadL_ZL10op_sigmoidfEEfEvPKT0_PS0_i.has_indirect_call, 0
	.section	.AMDGPU.csdata,"",@progbits
; Kernel info:
; codeLenInByte = 296
; TotalNumSgprs: 11
; NumVgprs: 8
; ScratchSize: 0
; MemoryBound: 0
; FloatMode: 240
; IeeeMode: 1
; LDSByteSize: 0 bytes/workgroup (compile time only)
; SGPRBlocks: 1
; VGPRBlocks: 1
; NumSGPRsForWavesPerEU: 11
; NumVGPRsForWavesPerEU: 8
; Occupancy: 10
; WaveLimiterHint : 0
; COMPUTE_PGM_RSRC2:SCRATCH_EN: 0
; COMPUTE_PGM_RSRC2:USER_SGPR: 6
; COMPUTE_PGM_RSRC2:TRAP_HANDLER: 0
; COMPUTE_PGM_RSRC2:TGID_X_EN: 1
; COMPUTE_PGM_RSRC2:TGID_Y_EN: 0
; COMPUTE_PGM_RSRC2:TGID_Z_EN: 0
; COMPUTE_PGM_RSRC2:TIDIG_COMP_CNT: 0
	.section	.text._ZL15unary_op_kernelIXadL_ZL14op_hardsigmoidfEE6__halfEvPKT0_PS1_i,"axG",@progbits,_ZL15unary_op_kernelIXadL_ZL14op_hardsigmoidfEE6__halfEvPKT0_PS1_i,comdat
	.globl	_ZL15unary_op_kernelIXadL_ZL14op_hardsigmoidfEE6__halfEvPKT0_PS1_i ; -- Begin function _ZL15unary_op_kernelIXadL_ZL14op_hardsigmoidfEE6__halfEvPKT0_PS1_i
	.p2align	8
	.type	_ZL15unary_op_kernelIXadL_ZL14op_hardsigmoidfEE6__halfEvPKT0_PS1_i,@function
_ZL15unary_op_kernelIXadL_ZL14op_hardsigmoidfEE6__halfEvPKT0_PS1_i: ; @_ZL15unary_op_kernelIXadL_ZL14op_hardsigmoidfEE6__halfEvPKT0_PS1_i
; %bb.0:
	s_load_dword s0, s[4:5], 0x24
	s_load_dword s1, s[4:5], 0x10
	s_waitcnt lgkmcnt(0)
	s_and_b32 s0, s0, 0xffff
	s_mul_i32 s6, s6, s0
	v_add_u32_e32 v0, s6, v0
	v_cmp_gt_i32_e32 vcc, s1, v0
	s_and_saveexec_b64 s[0:1], vcc
	s_cbranch_execz .LBB22_2
; %bb.1:
	s_load_dwordx4 s[0:3], s[4:5], 0x0
	v_ashrrev_i32_e32 v1, 31, v0
	v_lshlrev_b64 v[0:1], 1, v[0:1]
	s_mov_b32 s4, 0x40c00000
	s_waitcnt lgkmcnt(0)
	v_mov_b32_e32 v3, s1
	v_add_co_u32_e32 v2, vcc, s0, v0
	v_addc_co_u32_e32 v3, vcc, v3, v1, vcc
	global_load_ushort v2, v[2:3], off
	s_waitcnt vmcnt(0)
	v_cvt_f32_f16_e32 v2, v2
	v_add_f32_e32 v2, 0x40400000, v2
	v_div_scale_f32 v3, s[0:1], s4, s4, v2
	v_div_scale_f32 v4, vcc, v2, s4, v2
	v_rcp_f32_e32 v5, v3
	v_fma_f32 v6, -v3, v5, 1.0
	v_fmac_f32_e32 v5, v6, v5
	v_mul_f32_e32 v6, v4, v5
	v_fma_f32 v7, -v3, v6, v4
	v_fmac_f32_e32 v6, v7, v5
	v_fma_f32 v3, -v3, v6, v4
	v_div_fmas_f32 v3, v3, v5, v6
	v_mov_b32_e32 v4, s3
	v_add_co_u32_e32 v0, vcc, s2, v0
	v_addc_co_u32_e32 v1, vcc, v4, v1, vcc
	v_div_fixup_f32 v2, v3, s4, v2 clamp
	v_cvt_f16_f32_e32 v2, v2
	global_store_short v[0:1], v2, off
.LBB22_2:
	s_endpgm
	.section	.rodata,"a",@progbits
	.p2align	6, 0x0
	.amdhsa_kernel _ZL15unary_op_kernelIXadL_ZL14op_hardsigmoidfEE6__halfEvPKT0_PS1_i
		.amdhsa_group_segment_fixed_size 0
		.amdhsa_private_segment_fixed_size 0
		.amdhsa_kernarg_size 280
		.amdhsa_user_sgpr_count 6
		.amdhsa_user_sgpr_private_segment_buffer 1
		.amdhsa_user_sgpr_dispatch_ptr 0
		.amdhsa_user_sgpr_queue_ptr 0
		.amdhsa_user_sgpr_kernarg_segment_ptr 1
		.amdhsa_user_sgpr_dispatch_id 0
		.amdhsa_user_sgpr_flat_scratch_init 0
		.amdhsa_user_sgpr_private_segment_size 0
		.amdhsa_uses_dynamic_stack 0
		.amdhsa_system_sgpr_private_segment_wavefront_offset 0
		.amdhsa_system_sgpr_workgroup_id_x 1
		.amdhsa_system_sgpr_workgroup_id_y 0
		.amdhsa_system_sgpr_workgroup_id_z 0
		.amdhsa_system_sgpr_workgroup_info 0
		.amdhsa_system_vgpr_workitem_id 0
		.amdhsa_next_free_vgpr 8
		.amdhsa_next_free_sgpr 7
		.amdhsa_reserve_vcc 1
		.amdhsa_reserve_flat_scratch 0
		.amdhsa_float_round_mode_32 0
		.amdhsa_float_round_mode_16_64 0
		.amdhsa_float_denorm_mode_32 3
		.amdhsa_float_denorm_mode_16_64 3
		.amdhsa_dx10_clamp 1
		.amdhsa_ieee_mode 1
		.amdhsa_fp16_overflow 0
		.amdhsa_exception_fp_ieee_invalid_op 0
		.amdhsa_exception_fp_denorm_src 0
		.amdhsa_exception_fp_ieee_div_zero 0
		.amdhsa_exception_fp_ieee_overflow 0
		.amdhsa_exception_fp_ieee_underflow 0
		.amdhsa_exception_fp_ieee_inexact 0
		.amdhsa_exception_int_div_zero 0
	.end_amdhsa_kernel
	.section	.text._ZL15unary_op_kernelIXadL_ZL14op_hardsigmoidfEE6__halfEvPKT0_PS1_i,"axG",@progbits,_ZL15unary_op_kernelIXadL_ZL14op_hardsigmoidfEE6__halfEvPKT0_PS1_i,comdat
.Lfunc_end22:
	.size	_ZL15unary_op_kernelIXadL_ZL14op_hardsigmoidfEE6__halfEvPKT0_PS1_i, .Lfunc_end22-_ZL15unary_op_kernelIXadL_ZL14op_hardsigmoidfEE6__halfEvPKT0_PS1_i
                                        ; -- End function
	.set _ZL15unary_op_kernelIXadL_ZL14op_hardsigmoidfEE6__halfEvPKT0_PS1_i.num_vgpr, 8
	.set _ZL15unary_op_kernelIXadL_ZL14op_hardsigmoidfEE6__halfEvPKT0_PS1_i.num_agpr, 0
	.set _ZL15unary_op_kernelIXadL_ZL14op_hardsigmoidfEE6__halfEvPKT0_PS1_i.numbered_sgpr, 7
	.set _ZL15unary_op_kernelIXadL_ZL14op_hardsigmoidfEE6__halfEvPKT0_PS1_i.num_named_barrier, 0
	.set _ZL15unary_op_kernelIXadL_ZL14op_hardsigmoidfEE6__halfEvPKT0_PS1_i.private_seg_size, 0
	.set _ZL15unary_op_kernelIXadL_ZL14op_hardsigmoidfEE6__halfEvPKT0_PS1_i.uses_vcc, 1
	.set _ZL15unary_op_kernelIXadL_ZL14op_hardsigmoidfEE6__halfEvPKT0_PS1_i.uses_flat_scratch, 0
	.set _ZL15unary_op_kernelIXadL_ZL14op_hardsigmoidfEE6__halfEvPKT0_PS1_i.has_dyn_sized_stack, 0
	.set _ZL15unary_op_kernelIXadL_ZL14op_hardsigmoidfEE6__halfEvPKT0_PS1_i.has_recursion, 0
	.set _ZL15unary_op_kernelIXadL_ZL14op_hardsigmoidfEE6__halfEvPKT0_PS1_i.has_indirect_call, 0
	.section	.AMDGPU.csdata,"",@progbits
; Kernel info:
; codeLenInByte = 216
; TotalNumSgprs: 11
; NumVgprs: 8
; ScratchSize: 0
; MemoryBound: 0
; FloatMode: 240
; IeeeMode: 1
; LDSByteSize: 0 bytes/workgroup (compile time only)
; SGPRBlocks: 1
; VGPRBlocks: 1
; NumSGPRsForWavesPerEU: 11
; NumVGPRsForWavesPerEU: 8
; Occupancy: 10
; WaveLimiterHint : 0
; COMPUTE_PGM_RSRC2:SCRATCH_EN: 0
; COMPUTE_PGM_RSRC2:USER_SGPR: 6
; COMPUTE_PGM_RSRC2:TRAP_HANDLER: 0
; COMPUTE_PGM_RSRC2:TGID_X_EN: 1
; COMPUTE_PGM_RSRC2:TGID_Y_EN: 0
; COMPUTE_PGM_RSRC2:TGID_Z_EN: 0
; COMPUTE_PGM_RSRC2:TIDIG_COMP_CNT: 0
	.section	.text._ZL15unary_op_kernelIXadL_ZL14op_hardsigmoidfEEfEvPKT0_PS0_i,"axG",@progbits,_ZL15unary_op_kernelIXadL_ZL14op_hardsigmoidfEEfEvPKT0_PS0_i,comdat
	.globl	_ZL15unary_op_kernelIXadL_ZL14op_hardsigmoidfEEfEvPKT0_PS0_i ; -- Begin function _ZL15unary_op_kernelIXadL_ZL14op_hardsigmoidfEEfEvPKT0_PS0_i
	.p2align	8
	.type	_ZL15unary_op_kernelIXadL_ZL14op_hardsigmoidfEEfEvPKT0_PS0_i,@function
_ZL15unary_op_kernelIXadL_ZL14op_hardsigmoidfEEfEvPKT0_PS0_i: ; @_ZL15unary_op_kernelIXadL_ZL14op_hardsigmoidfEEfEvPKT0_PS0_i
; %bb.0:
	s_load_dword s0, s[4:5], 0x24
	s_load_dword s1, s[4:5], 0x10
	s_waitcnt lgkmcnt(0)
	s_and_b32 s0, s0, 0xffff
	s_mul_i32 s6, s6, s0
	v_add_u32_e32 v0, s6, v0
	v_cmp_gt_i32_e32 vcc, s1, v0
	s_and_saveexec_b64 s[0:1], vcc
	s_cbranch_execz .LBB23_2
; %bb.1:
	s_load_dwordx4 s[0:3], s[4:5], 0x0
	v_ashrrev_i32_e32 v1, 31, v0
	v_lshlrev_b64 v[0:1], 2, v[0:1]
	s_mov_b32 s4, 0x40c00000
	s_waitcnt lgkmcnt(0)
	v_mov_b32_e32 v3, s1
	v_add_co_u32_e32 v2, vcc, s0, v0
	v_addc_co_u32_e32 v3, vcc, v3, v1, vcc
	global_load_dword v2, v[2:3], off
	s_waitcnt vmcnt(0)
	v_add_f32_e32 v2, 0x40400000, v2
	v_div_scale_f32 v3, s[0:1], s4, s4, v2
	v_div_scale_f32 v4, vcc, v2, s4, v2
	v_rcp_f32_e32 v5, v3
	v_fma_f32 v6, -v3, v5, 1.0
	v_fmac_f32_e32 v5, v6, v5
	v_mul_f32_e32 v6, v4, v5
	v_fma_f32 v7, -v3, v6, v4
	v_fmac_f32_e32 v6, v7, v5
	v_fma_f32 v3, -v3, v6, v4
	v_div_fmas_f32 v3, v3, v5, v6
	v_mov_b32_e32 v4, s3
	v_add_co_u32_e32 v0, vcc, s2, v0
	v_addc_co_u32_e32 v1, vcc, v4, v1, vcc
	v_div_fixup_f32 v2, v3, s4, v2 clamp
	global_store_dword v[0:1], v2, off
.LBB23_2:
	s_endpgm
	.section	.rodata,"a",@progbits
	.p2align	6, 0x0
	.amdhsa_kernel _ZL15unary_op_kernelIXadL_ZL14op_hardsigmoidfEEfEvPKT0_PS0_i
		.amdhsa_group_segment_fixed_size 0
		.amdhsa_private_segment_fixed_size 0
		.amdhsa_kernarg_size 280
		.amdhsa_user_sgpr_count 6
		.amdhsa_user_sgpr_private_segment_buffer 1
		.amdhsa_user_sgpr_dispatch_ptr 0
		.amdhsa_user_sgpr_queue_ptr 0
		.amdhsa_user_sgpr_kernarg_segment_ptr 1
		.amdhsa_user_sgpr_dispatch_id 0
		.amdhsa_user_sgpr_flat_scratch_init 0
		.amdhsa_user_sgpr_private_segment_size 0
		.amdhsa_uses_dynamic_stack 0
		.amdhsa_system_sgpr_private_segment_wavefront_offset 0
		.amdhsa_system_sgpr_workgroup_id_x 1
		.amdhsa_system_sgpr_workgroup_id_y 0
		.amdhsa_system_sgpr_workgroup_id_z 0
		.amdhsa_system_sgpr_workgroup_info 0
		.amdhsa_system_vgpr_workitem_id 0
		.amdhsa_next_free_vgpr 8
		.amdhsa_next_free_sgpr 7
		.amdhsa_reserve_vcc 1
		.amdhsa_reserve_flat_scratch 0
		.amdhsa_float_round_mode_32 0
		.amdhsa_float_round_mode_16_64 0
		.amdhsa_float_denorm_mode_32 3
		.amdhsa_float_denorm_mode_16_64 3
		.amdhsa_dx10_clamp 1
		.amdhsa_ieee_mode 1
		.amdhsa_fp16_overflow 0
		.amdhsa_exception_fp_ieee_invalid_op 0
		.amdhsa_exception_fp_denorm_src 0
		.amdhsa_exception_fp_ieee_div_zero 0
		.amdhsa_exception_fp_ieee_overflow 0
		.amdhsa_exception_fp_ieee_underflow 0
		.amdhsa_exception_fp_ieee_inexact 0
		.amdhsa_exception_int_div_zero 0
	.end_amdhsa_kernel
	.section	.text._ZL15unary_op_kernelIXadL_ZL14op_hardsigmoidfEEfEvPKT0_PS0_i,"axG",@progbits,_ZL15unary_op_kernelIXadL_ZL14op_hardsigmoidfEEfEvPKT0_PS0_i,comdat
.Lfunc_end23:
	.size	_ZL15unary_op_kernelIXadL_ZL14op_hardsigmoidfEEfEvPKT0_PS0_i, .Lfunc_end23-_ZL15unary_op_kernelIXadL_ZL14op_hardsigmoidfEEfEvPKT0_PS0_i
                                        ; -- End function
	.set _ZL15unary_op_kernelIXadL_ZL14op_hardsigmoidfEEfEvPKT0_PS0_i.num_vgpr, 8
	.set _ZL15unary_op_kernelIXadL_ZL14op_hardsigmoidfEEfEvPKT0_PS0_i.num_agpr, 0
	.set _ZL15unary_op_kernelIXadL_ZL14op_hardsigmoidfEEfEvPKT0_PS0_i.numbered_sgpr, 7
	.set _ZL15unary_op_kernelIXadL_ZL14op_hardsigmoidfEEfEvPKT0_PS0_i.num_named_barrier, 0
	.set _ZL15unary_op_kernelIXadL_ZL14op_hardsigmoidfEEfEvPKT0_PS0_i.private_seg_size, 0
	.set _ZL15unary_op_kernelIXadL_ZL14op_hardsigmoidfEEfEvPKT0_PS0_i.uses_vcc, 1
	.set _ZL15unary_op_kernelIXadL_ZL14op_hardsigmoidfEEfEvPKT0_PS0_i.uses_flat_scratch, 0
	.set _ZL15unary_op_kernelIXadL_ZL14op_hardsigmoidfEEfEvPKT0_PS0_i.has_dyn_sized_stack, 0
	.set _ZL15unary_op_kernelIXadL_ZL14op_hardsigmoidfEEfEvPKT0_PS0_i.has_recursion, 0
	.set _ZL15unary_op_kernelIXadL_ZL14op_hardsigmoidfEEfEvPKT0_PS0_i.has_indirect_call, 0
	.section	.AMDGPU.csdata,"",@progbits
; Kernel info:
; codeLenInByte = 208
; TotalNumSgprs: 11
; NumVgprs: 8
; ScratchSize: 0
; MemoryBound: 0
; FloatMode: 240
; IeeeMode: 1
; LDSByteSize: 0 bytes/workgroup (compile time only)
; SGPRBlocks: 1
; VGPRBlocks: 1
; NumSGPRsForWavesPerEU: 11
; NumVGPRsForWavesPerEU: 8
; Occupancy: 10
; WaveLimiterHint : 0
; COMPUTE_PGM_RSRC2:SCRATCH_EN: 0
; COMPUTE_PGM_RSRC2:USER_SGPR: 6
; COMPUTE_PGM_RSRC2:TRAP_HANDLER: 0
; COMPUTE_PGM_RSRC2:TGID_X_EN: 1
; COMPUTE_PGM_RSRC2:TGID_Y_EN: 0
; COMPUTE_PGM_RSRC2:TGID_Z_EN: 0
; COMPUTE_PGM_RSRC2:TIDIG_COMP_CNT: 0
	.section	.text._ZL15unary_op_kernelIXadL_ZL12op_hardswishfEE6__halfEvPKT0_PS1_i,"axG",@progbits,_ZL15unary_op_kernelIXadL_ZL12op_hardswishfEE6__halfEvPKT0_PS1_i,comdat
	.globl	_ZL15unary_op_kernelIXadL_ZL12op_hardswishfEE6__halfEvPKT0_PS1_i ; -- Begin function _ZL15unary_op_kernelIXadL_ZL12op_hardswishfEE6__halfEvPKT0_PS1_i
	.p2align	8
	.type	_ZL15unary_op_kernelIXadL_ZL12op_hardswishfEE6__halfEvPKT0_PS1_i,@function
_ZL15unary_op_kernelIXadL_ZL12op_hardswishfEE6__halfEvPKT0_PS1_i: ; @_ZL15unary_op_kernelIXadL_ZL12op_hardswishfEE6__halfEvPKT0_PS1_i
; %bb.0:
	s_load_dword s0, s[4:5], 0x24
	s_load_dword s1, s[4:5], 0x10
	s_waitcnt lgkmcnt(0)
	s_and_b32 s0, s0, 0xffff
	s_mul_i32 s6, s6, s0
	v_add_u32_e32 v0, s6, v0
	v_cmp_gt_i32_e32 vcc, s1, v0
	s_and_saveexec_b64 s[0:1], vcc
	s_cbranch_execz .LBB24_2
; %bb.1:
	s_load_dwordx4 s[0:3], s[4:5], 0x0
	v_ashrrev_i32_e32 v1, 31, v0
	v_lshlrev_b64 v[0:1], 1, v[0:1]
	s_mov_b32 s4, 0x40c00000
	s_waitcnt lgkmcnt(0)
	v_mov_b32_e32 v3, s1
	v_add_co_u32_e32 v2, vcc, s0, v0
	v_addc_co_u32_e32 v3, vcc, v3, v1, vcc
	global_load_ushort v2, v[2:3], off
	s_waitcnt vmcnt(0)
	v_cvt_f32_f16_e32 v3, v2
	v_add_f32_e32 v3, 0x40400000, v3
	v_div_scale_f32 v4, s[0:1], s4, s4, v3
	v_div_scale_f32 v5, vcc, v3, s4, v3
	v_rcp_f32_e32 v6, v4
	v_fma_f32 v7, -v4, v6, 1.0
	v_fmac_f32_e32 v6, v7, v6
	v_mul_f32_e32 v7, v5, v6
	v_fma_f32 v8, -v4, v7, v5
	v_fmac_f32_e32 v7, v8, v6
	v_fma_f32 v4, -v4, v7, v5
	v_div_fmas_f32 v4, v4, v6, v7
	v_mov_b32_e32 v5, s3
	v_add_co_u32_e32 v0, vcc, s2, v0
	v_addc_co_u32_e32 v1, vcc, v5, v1, vcc
	v_div_fixup_f32 v3, v4, s4, v3 clamp
	v_fma_mixlo_f16 v2, v3, v2, 0 op_sel_hi:[0,1,0]
	global_store_short v[0:1], v2, off
.LBB24_2:
	s_endpgm
	.section	.rodata,"a",@progbits
	.p2align	6, 0x0
	.amdhsa_kernel _ZL15unary_op_kernelIXadL_ZL12op_hardswishfEE6__halfEvPKT0_PS1_i
		.amdhsa_group_segment_fixed_size 0
		.amdhsa_private_segment_fixed_size 0
		.amdhsa_kernarg_size 280
		.amdhsa_user_sgpr_count 6
		.amdhsa_user_sgpr_private_segment_buffer 1
		.amdhsa_user_sgpr_dispatch_ptr 0
		.amdhsa_user_sgpr_queue_ptr 0
		.amdhsa_user_sgpr_kernarg_segment_ptr 1
		.amdhsa_user_sgpr_dispatch_id 0
		.amdhsa_user_sgpr_flat_scratch_init 0
		.amdhsa_user_sgpr_private_segment_size 0
		.amdhsa_uses_dynamic_stack 0
		.amdhsa_system_sgpr_private_segment_wavefront_offset 0
		.amdhsa_system_sgpr_workgroup_id_x 1
		.amdhsa_system_sgpr_workgroup_id_y 0
		.amdhsa_system_sgpr_workgroup_id_z 0
		.amdhsa_system_sgpr_workgroup_info 0
		.amdhsa_system_vgpr_workitem_id 0
		.amdhsa_next_free_vgpr 9
		.amdhsa_next_free_sgpr 7
		.amdhsa_reserve_vcc 1
		.amdhsa_reserve_flat_scratch 0
		.amdhsa_float_round_mode_32 0
		.amdhsa_float_round_mode_16_64 0
		.amdhsa_float_denorm_mode_32 3
		.amdhsa_float_denorm_mode_16_64 3
		.amdhsa_dx10_clamp 1
		.amdhsa_ieee_mode 1
		.amdhsa_fp16_overflow 0
		.amdhsa_exception_fp_ieee_invalid_op 0
		.amdhsa_exception_fp_denorm_src 0
		.amdhsa_exception_fp_ieee_div_zero 0
		.amdhsa_exception_fp_ieee_overflow 0
		.amdhsa_exception_fp_ieee_underflow 0
		.amdhsa_exception_fp_ieee_inexact 0
		.amdhsa_exception_int_div_zero 0
	.end_amdhsa_kernel
	.section	.text._ZL15unary_op_kernelIXadL_ZL12op_hardswishfEE6__halfEvPKT0_PS1_i,"axG",@progbits,_ZL15unary_op_kernelIXadL_ZL12op_hardswishfEE6__halfEvPKT0_PS1_i,comdat
.Lfunc_end24:
	.size	_ZL15unary_op_kernelIXadL_ZL12op_hardswishfEE6__halfEvPKT0_PS1_i, .Lfunc_end24-_ZL15unary_op_kernelIXadL_ZL12op_hardswishfEE6__halfEvPKT0_PS1_i
                                        ; -- End function
	.set _ZL15unary_op_kernelIXadL_ZL12op_hardswishfEE6__halfEvPKT0_PS1_i.num_vgpr, 9
	.set _ZL15unary_op_kernelIXadL_ZL12op_hardswishfEE6__halfEvPKT0_PS1_i.num_agpr, 0
	.set _ZL15unary_op_kernelIXadL_ZL12op_hardswishfEE6__halfEvPKT0_PS1_i.numbered_sgpr, 7
	.set _ZL15unary_op_kernelIXadL_ZL12op_hardswishfEE6__halfEvPKT0_PS1_i.num_named_barrier, 0
	.set _ZL15unary_op_kernelIXadL_ZL12op_hardswishfEE6__halfEvPKT0_PS1_i.private_seg_size, 0
	.set _ZL15unary_op_kernelIXadL_ZL12op_hardswishfEE6__halfEvPKT0_PS1_i.uses_vcc, 1
	.set _ZL15unary_op_kernelIXadL_ZL12op_hardswishfEE6__halfEvPKT0_PS1_i.uses_flat_scratch, 0
	.set _ZL15unary_op_kernelIXadL_ZL12op_hardswishfEE6__halfEvPKT0_PS1_i.has_dyn_sized_stack, 0
	.set _ZL15unary_op_kernelIXadL_ZL12op_hardswishfEE6__halfEvPKT0_PS1_i.has_recursion, 0
	.set _ZL15unary_op_kernelIXadL_ZL12op_hardswishfEE6__halfEvPKT0_PS1_i.has_indirect_call, 0
	.section	.AMDGPU.csdata,"",@progbits
; Kernel info:
; codeLenInByte = 220
; TotalNumSgprs: 11
; NumVgprs: 9
; ScratchSize: 0
; MemoryBound: 0
; FloatMode: 240
; IeeeMode: 1
; LDSByteSize: 0 bytes/workgroup (compile time only)
; SGPRBlocks: 1
; VGPRBlocks: 2
; NumSGPRsForWavesPerEU: 11
; NumVGPRsForWavesPerEU: 9
; Occupancy: 10
; WaveLimiterHint : 0
; COMPUTE_PGM_RSRC2:SCRATCH_EN: 0
; COMPUTE_PGM_RSRC2:USER_SGPR: 6
; COMPUTE_PGM_RSRC2:TRAP_HANDLER: 0
; COMPUTE_PGM_RSRC2:TGID_X_EN: 1
; COMPUTE_PGM_RSRC2:TGID_Y_EN: 0
; COMPUTE_PGM_RSRC2:TGID_Z_EN: 0
; COMPUTE_PGM_RSRC2:TIDIG_COMP_CNT: 0
	.section	.text._ZL15unary_op_kernelIXadL_ZL12op_hardswishfEEfEvPKT0_PS0_i,"axG",@progbits,_ZL15unary_op_kernelIXadL_ZL12op_hardswishfEEfEvPKT0_PS0_i,comdat
	.globl	_ZL15unary_op_kernelIXadL_ZL12op_hardswishfEEfEvPKT0_PS0_i ; -- Begin function _ZL15unary_op_kernelIXadL_ZL12op_hardswishfEEfEvPKT0_PS0_i
	.p2align	8
	.type	_ZL15unary_op_kernelIXadL_ZL12op_hardswishfEEfEvPKT0_PS0_i,@function
_ZL15unary_op_kernelIXadL_ZL12op_hardswishfEEfEvPKT0_PS0_i: ; @_ZL15unary_op_kernelIXadL_ZL12op_hardswishfEEfEvPKT0_PS0_i
; %bb.0:
	s_load_dword s0, s[4:5], 0x24
	s_load_dword s1, s[4:5], 0x10
	s_waitcnt lgkmcnt(0)
	s_and_b32 s0, s0, 0xffff
	s_mul_i32 s6, s6, s0
	v_add_u32_e32 v0, s6, v0
	v_cmp_gt_i32_e32 vcc, s1, v0
	s_and_saveexec_b64 s[0:1], vcc
	s_cbranch_execz .LBB25_2
; %bb.1:
	s_load_dwordx4 s[0:3], s[4:5], 0x0
	v_ashrrev_i32_e32 v1, 31, v0
	v_lshlrev_b64 v[0:1], 2, v[0:1]
	s_mov_b32 s4, 0x40c00000
	s_waitcnt lgkmcnt(0)
	v_mov_b32_e32 v3, s1
	v_add_co_u32_e32 v2, vcc, s0, v0
	v_addc_co_u32_e32 v3, vcc, v3, v1, vcc
	global_load_dword v2, v[2:3], off
	s_waitcnt vmcnt(0)
	v_add_f32_e32 v3, 0x40400000, v2
	v_div_scale_f32 v4, s[0:1], s4, s4, v3
	v_div_scale_f32 v5, vcc, v3, s4, v3
	v_rcp_f32_e32 v6, v4
	v_fma_f32 v7, -v4, v6, 1.0
	v_fmac_f32_e32 v6, v7, v6
	v_mul_f32_e32 v7, v5, v6
	v_fma_f32 v8, -v4, v7, v5
	v_fmac_f32_e32 v7, v8, v6
	v_fma_f32 v4, -v4, v7, v5
	v_div_fmas_f32 v4, v4, v6, v7
	v_mov_b32_e32 v5, s3
	v_add_co_u32_e32 v0, vcc, s2, v0
	v_addc_co_u32_e32 v1, vcc, v5, v1, vcc
	v_div_fixup_f32 v3, v4, s4, v3 clamp
	v_mul_f32_e32 v2, v2, v3
	global_store_dword v[0:1], v2, off
.LBB25_2:
	s_endpgm
	.section	.rodata,"a",@progbits
	.p2align	6, 0x0
	.amdhsa_kernel _ZL15unary_op_kernelIXadL_ZL12op_hardswishfEEfEvPKT0_PS0_i
		.amdhsa_group_segment_fixed_size 0
		.amdhsa_private_segment_fixed_size 0
		.amdhsa_kernarg_size 280
		.amdhsa_user_sgpr_count 6
		.amdhsa_user_sgpr_private_segment_buffer 1
		.amdhsa_user_sgpr_dispatch_ptr 0
		.amdhsa_user_sgpr_queue_ptr 0
		.amdhsa_user_sgpr_kernarg_segment_ptr 1
		.amdhsa_user_sgpr_dispatch_id 0
		.amdhsa_user_sgpr_flat_scratch_init 0
		.amdhsa_user_sgpr_private_segment_size 0
		.amdhsa_uses_dynamic_stack 0
		.amdhsa_system_sgpr_private_segment_wavefront_offset 0
		.amdhsa_system_sgpr_workgroup_id_x 1
		.amdhsa_system_sgpr_workgroup_id_y 0
		.amdhsa_system_sgpr_workgroup_id_z 0
		.amdhsa_system_sgpr_workgroup_info 0
		.amdhsa_system_vgpr_workitem_id 0
		.amdhsa_next_free_vgpr 9
		.amdhsa_next_free_sgpr 7
		.amdhsa_reserve_vcc 1
		.amdhsa_reserve_flat_scratch 0
		.amdhsa_float_round_mode_32 0
		.amdhsa_float_round_mode_16_64 0
		.amdhsa_float_denorm_mode_32 3
		.amdhsa_float_denorm_mode_16_64 3
		.amdhsa_dx10_clamp 1
		.amdhsa_ieee_mode 1
		.amdhsa_fp16_overflow 0
		.amdhsa_exception_fp_ieee_invalid_op 0
		.amdhsa_exception_fp_denorm_src 0
		.amdhsa_exception_fp_ieee_div_zero 0
		.amdhsa_exception_fp_ieee_overflow 0
		.amdhsa_exception_fp_ieee_underflow 0
		.amdhsa_exception_fp_ieee_inexact 0
		.amdhsa_exception_int_div_zero 0
	.end_amdhsa_kernel
	.section	.text._ZL15unary_op_kernelIXadL_ZL12op_hardswishfEEfEvPKT0_PS0_i,"axG",@progbits,_ZL15unary_op_kernelIXadL_ZL12op_hardswishfEEfEvPKT0_PS0_i,comdat
.Lfunc_end25:
	.size	_ZL15unary_op_kernelIXadL_ZL12op_hardswishfEEfEvPKT0_PS0_i, .Lfunc_end25-_ZL15unary_op_kernelIXadL_ZL12op_hardswishfEEfEvPKT0_PS0_i
                                        ; -- End function
	.set _ZL15unary_op_kernelIXadL_ZL12op_hardswishfEEfEvPKT0_PS0_i.num_vgpr, 9
	.set _ZL15unary_op_kernelIXadL_ZL12op_hardswishfEEfEvPKT0_PS0_i.num_agpr, 0
	.set _ZL15unary_op_kernelIXadL_ZL12op_hardswishfEEfEvPKT0_PS0_i.numbered_sgpr, 7
	.set _ZL15unary_op_kernelIXadL_ZL12op_hardswishfEEfEvPKT0_PS0_i.num_named_barrier, 0
	.set _ZL15unary_op_kernelIXadL_ZL12op_hardswishfEEfEvPKT0_PS0_i.private_seg_size, 0
	.set _ZL15unary_op_kernelIXadL_ZL12op_hardswishfEEfEvPKT0_PS0_i.uses_vcc, 1
	.set _ZL15unary_op_kernelIXadL_ZL12op_hardswishfEEfEvPKT0_PS0_i.uses_flat_scratch, 0
	.set _ZL15unary_op_kernelIXadL_ZL12op_hardswishfEEfEvPKT0_PS0_i.has_dyn_sized_stack, 0
	.set _ZL15unary_op_kernelIXadL_ZL12op_hardswishfEEfEvPKT0_PS0_i.has_recursion, 0
	.set _ZL15unary_op_kernelIXadL_ZL12op_hardswishfEEfEvPKT0_PS0_i.has_indirect_call, 0
	.section	.AMDGPU.csdata,"",@progbits
; Kernel info:
; codeLenInByte = 212
; TotalNumSgprs: 11
; NumVgprs: 9
; ScratchSize: 0
; MemoryBound: 0
; FloatMode: 240
; IeeeMode: 1
; LDSByteSize: 0 bytes/workgroup (compile time only)
; SGPRBlocks: 1
; VGPRBlocks: 2
; NumSGPRsForWavesPerEU: 11
; NumVGPRsForWavesPerEU: 9
; Occupancy: 10
; WaveLimiterHint : 0
; COMPUTE_PGM_RSRC2:SCRATCH_EN: 0
; COMPUTE_PGM_RSRC2:USER_SGPR: 6
; COMPUTE_PGM_RSRC2:TRAP_HANDLER: 0
; COMPUTE_PGM_RSRC2:TGID_X_EN: 1
; COMPUTE_PGM_RSRC2:TGID_Y_EN: 0
; COMPUTE_PGM_RSRC2:TGID_Z_EN: 0
; COMPUTE_PGM_RSRC2:TIDIG_COMP_CNT: 0
	.section	.text._ZL15unary_op_kernelIXadL_ZL6op_expfEE6__halfEvPKT0_PS1_i,"axG",@progbits,_ZL15unary_op_kernelIXadL_ZL6op_expfEE6__halfEvPKT0_PS1_i,comdat
	.globl	_ZL15unary_op_kernelIXadL_ZL6op_expfEE6__halfEvPKT0_PS1_i ; -- Begin function _ZL15unary_op_kernelIXadL_ZL6op_expfEE6__halfEvPKT0_PS1_i
	.p2align	8
	.type	_ZL15unary_op_kernelIXadL_ZL6op_expfEE6__halfEvPKT0_PS1_i,@function
_ZL15unary_op_kernelIXadL_ZL6op_expfEE6__halfEvPKT0_PS1_i: ; @_ZL15unary_op_kernelIXadL_ZL6op_expfEE6__halfEvPKT0_PS1_i
; %bb.0:
	s_load_dword s0, s[4:5], 0x24
	s_load_dword s1, s[4:5], 0x10
	s_waitcnt lgkmcnt(0)
	s_and_b32 s0, s0, 0xffff
	s_mul_i32 s6, s6, s0
	v_add_u32_e32 v0, s6, v0
	v_cmp_gt_i32_e32 vcc, s1, v0
	s_and_saveexec_b64 s[0:1], vcc
	s_cbranch_execz .LBB26_2
; %bb.1:
	s_load_dwordx4 s[0:3], s[4:5], 0x0
	v_ashrrev_i32_e32 v1, 31, v0
	v_lshlrev_b64 v[0:1], 1, v[0:1]
	s_mov_b32 s4, 0xc2ce8ed0
	s_waitcnt lgkmcnt(0)
	v_mov_b32_e32 v3, s1
	v_add_co_u32_e32 v2, vcc, s0, v0
	v_addc_co_u32_e32 v3, vcc, v3, v1, vcc
	global_load_ushort v2, v[2:3], off
	s_mov_b32 s0, 0x3fb8aa3b
	s_mov_b32 s1, 0x32a5705f
	s_waitcnt vmcnt(0)
	v_cvt_f32_f16_e32 v3, v2
	v_mul_f32_e32 v4, 0x3fb8aa3b, v3
	v_fma_mix_f32 v5, v2, s0, -v4 op_sel_hi:[1,0,0]
	v_rndne_f32_e32 v6, v4
	v_fma_mix_f32 v2, v2, s1, v5 op_sel_hi:[1,0,0]
	v_sub_f32_e32 v4, v4, v6
	v_add_f32_e32 v2, v4, v2
	v_cvt_i32_f32_e32 v5, v6
	v_exp_f32_e32 v2, v2
	s_mov_b32 s0, 0x42b17218
	v_cmp_ngt_f32_e32 vcc, s4, v3
	v_mov_b32_e32 v4, 0x7f800000
	v_ldexp_f32 v2, v2, v5
	v_cndmask_b32_e32 v2, 0, v2, vcc
	v_cmp_nlt_f32_e32 vcc, s0, v3
	v_cndmask_b32_e32 v2, v4, v2, vcc
	v_cvt_f16_f32_e32 v2, v2
	v_mov_b32_e32 v6, s3
	v_add_co_u32_e32 v0, vcc, s2, v0
	v_addc_co_u32_e32 v1, vcc, v6, v1, vcc
	global_store_short v[0:1], v2, off
.LBB26_2:
	s_endpgm
	.section	.rodata,"a",@progbits
	.p2align	6, 0x0
	.amdhsa_kernel _ZL15unary_op_kernelIXadL_ZL6op_expfEE6__halfEvPKT0_PS1_i
		.amdhsa_group_segment_fixed_size 0
		.amdhsa_private_segment_fixed_size 0
		.amdhsa_kernarg_size 280
		.amdhsa_user_sgpr_count 6
		.amdhsa_user_sgpr_private_segment_buffer 1
		.amdhsa_user_sgpr_dispatch_ptr 0
		.amdhsa_user_sgpr_queue_ptr 0
		.amdhsa_user_sgpr_kernarg_segment_ptr 1
		.amdhsa_user_sgpr_dispatch_id 0
		.amdhsa_user_sgpr_flat_scratch_init 0
		.amdhsa_user_sgpr_private_segment_size 0
		.amdhsa_uses_dynamic_stack 0
		.amdhsa_system_sgpr_private_segment_wavefront_offset 0
		.amdhsa_system_sgpr_workgroup_id_x 1
		.amdhsa_system_sgpr_workgroup_id_y 0
		.amdhsa_system_sgpr_workgroup_id_z 0
		.amdhsa_system_sgpr_workgroup_info 0
		.amdhsa_system_vgpr_workitem_id 0
		.amdhsa_next_free_vgpr 7
		.amdhsa_next_free_sgpr 7
		.amdhsa_reserve_vcc 1
		.amdhsa_reserve_flat_scratch 0
		.amdhsa_float_round_mode_32 0
		.amdhsa_float_round_mode_16_64 0
		.amdhsa_float_denorm_mode_32 3
		.amdhsa_float_denorm_mode_16_64 3
		.amdhsa_dx10_clamp 1
		.amdhsa_ieee_mode 1
		.amdhsa_fp16_overflow 0
		.amdhsa_exception_fp_ieee_invalid_op 0
		.amdhsa_exception_fp_denorm_src 0
		.amdhsa_exception_fp_ieee_div_zero 0
		.amdhsa_exception_fp_ieee_overflow 0
		.amdhsa_exception_fp_ieee_underflow 0
		.amdhsa_exception_fp_ieee_inexact 0
		.amdhsa_exception_int_div_zero 0
	.end_amdhsa_kernel
	.section	.text._ZL15unary_op_kernelIXadL_ZL6op_expfEE6__halfEvPKT0_PS1_i,"axG",@progbits,_ZL15unary_op_kernelIXadL_ZL6op_expfEE6__halfEvPKT0_PS1_i,comdat
.Lfunc_end26:
	.size	_ZL15unary_op_kernelIXadL_ZL6op_expfEE6__halfEvPKT0_PS1_i, .Lfunc_end26-_ZL15unary_op_kernelIXadL_ZL6op_expfEE6__halfEvPKT0_PS1_i
                                        ; -- End function
	.set _ZL15unary_op_kernelIXadL_ZL6op_expfEE6__halfEvPKT0_PS1_i.num_vgpr, 7
	.set _ZL15unary_op_kernelIXadL_ZL6op_expfEE6__halfEvPKT0_PS1_i.num_agpr, 0
	.set _ZL15unary_op_kernelIXadL_ZL6op_expfEE6__halfEvPKT0_PS1_i.numbered_sgpr, 7
	.set _ZL15unary_op_kernelIXadL_ZL6op_expfEE6__halfEvPKT0_PS1_i.num_named_barrier, 0
	.set _ZL15unary_op_kernelIXadL_ZL6op_expfEE6__halfEvPKT0_PS1_i.private_seg_size, 0
	.set _ZL15unary_op_kernelIXadL_ZL6op_expfEE6__halfEvPKT0_PS1_i.uses_vcc, 1
	.set _ZL15unary_op_kernelIXadL_ZL6op_expfEE6__halfEvPKT0_PS1_i.uses_flat_scratch, 0
	.set _ZL15unary_op_kernelIXadL_ZL6op_expfEE6__halfEvPKT0_PS1_i.has_dyn_sized_stack, 0
	.set _ZL15unary_op_kernelIXadL_ZL6op_expfEE6__halfEvPKT0_PS1_i.has_recursion, 0
	.set _ZL15unary_op_kernelIXadL_ZL6op_expfEE6__halfEvPKT0_PS1_i.has_indirect_call, 0
	.section	.AMDGPU.csdata,"",@progbits
; Kernel info:
; codeLenInByte = 236
; TotalNumSgprs: 11
; NumVgprs: 7
; ScratchSize: 0
; MemoryBound: 0
; FloatMode: 240
; IeeeMode: 1
; LDSByteSize: 0 bytes/workgroup (compile time only)
; SGPRBlocks: 1
; VGPRBlocks: 1
; NumSGPRsForWavesPerEU: 11
; NumVGPRsForWavesPerEU: 7
; Occupancy: 10
; WaveLimiterHint : 0
; COMPUTE_PGM_RSRC2:SCRATCH_EN: 0
; COMPUTE_PGM_RSRC2:USER_SGPR: 6
; COMPUTE_PGM_RSRC2:TRAP_HANDLER: 0
; COMPUTE_PGM_RSRC2:TGID_X_EN: 1
; COMPUTE_PGM_RSRC2:TGID_Y_EN: 0
; COMPUTE_PGM_RSRC2:TGID_Z_EN: 0
; COMPUTE_PGM_RSRC2:TIDIG_COMP_CNT: 0
	.section	.text._ZL15unary_op_kernelIXadL_ZL6op_expfEEfEvPKT0_PS0_i,"axG",@progbits,_ZL15unary_op_kernelIXadL_ZL6op_expfEEfEvPKT0_PS0_i,comdat
	.globl	_ZL15unary_op_kernelIXadL_ZL6op_expfEEfEvPKT0_PS0_i ; -- Begin function _ZL15unary_op_kernelIXadL_ZL6op_expfEEfEvPKT0_PS0_i
	.p2align	8
	.type	_ZL15unary_op_kernelIXadL_ZL6op_expfEEfEvPKT0_PS0_i,@function
_ZL15unary_op_kernelIXadL_ZL6op_expfEEfEvPKT0_PS0_i: ; @_ZL15unary_op_kernelIXadL_ZL6op_expfEEfEvPKT0_PS0_i
; %bb.0:
	s_load_dword s0, s[4:5], 0x24
	s_load_dword s1, s[4:5], 0x10
	s_waitcnt lgkmcnt(0)
	s_and_b32 s0, s0, 0xffff
	s_mul_i32 s6, s6, s0
	v_add_u32_e32 v0, s6, v0
	v_cmp_gt_i32_e32 vcc, s1, v0
	s_and_saveexec_b64 s[0:1], vcc
	s_cbranch_execz .LBB27_2
; %bb.1:
	s_load_dwordx4 s[0:3], s[4:5], 0x0
	v_ashrrev_i32_e32 v1, 31, v0
	v_lshlrev_b64 v[0:1], 2, v[0:1]
	s_mov_b32 s4, 0x42b17218
	s_waitcnt lgkmcnt(0)
	v_mov_b32_e32 v3, s1
	v_add_co_u32_e32 v2, vcc, s0, v0
	v_addc_co_u32_e32 v3, vcc, v3, v1, vcc
	global_load_dword v2, v[2:3], off
	s_mov_b32 s0, 0x3fb8aa3b
	v_mov_b32_e32 v4, s3
	v_add_co_u32_e32 v0, vcc, s2, v0
	s_mov_b32 s1, 0xc2ce8ed0
	v_addc_co_u32_e32 v1, vcc, v4, v1, vcc
	v_mov_b32_e32 v3, 0x7f800000
	s_waitcnt vmcnt(0)
	v_mul_f32_e32 v5, 0x3fb8aa3b, v2
	v_fma_f32 v6, v2, s0, -v5
	v_rndne_f32_e32 v7, v5
	v_fmac_f32_e32 v6, 0x32a5705f, v2
	v_sub_f32_e32 v5, v5, v7
	v_add_f32_e32 v5, v5, v6
	v_cvt_i32_f32_e32 v7, v7
	v_exp_f32_e32 v5, v5
	v_cmp_ngt_f32_e32 vcc, s1, v2
	v_ldexp_f32 v4, v5, v7
	v_cndmask_b32_e32 v4, 0, v4, vcc
	v_cmp_nlt_f32_e32 vcc, s4, v2
	v_cndmask_b32_e32 v2, v3, v4, vcc
	global_store_dword v[0:1], v2, off
.LBB27_2:
	s_endpgm
	.section	.rodata,"a",@progbits
	.p2align	6, 0x0
	.amdhsa_kernel _ZL15unary_op_kernelIXadL_ZL6op_expfEEfEvPKT0_PS0_i
		.amdhsa_group_segment_fixed_size 0
		.amdhsa_private_segment_fixed_size 0
		.amdhsa_kernarg_size 280
		.amdhsa_user_sgpr_count 6
		.amdhsa_user_sgpr_private_segment_buffer 1
		.amdhsa_user_sgpr_dispatch_ptr 0
		.amdhsa_user_sgpr_queue_ptr 0
		.amdhsa_user_sgpr_kernarg_segment_ptr 1
		.amdhsa_user_sgpr_dispatch_id 0
		.amdhsa_user_sgpr_flat_scratch_init 0
		.amdhsa_user_sgpr_private_segment_size 0
		.amdhsa_uses_dynamic_stack 0
		.amdhsa_system_sgpr_private_segment_wavefront_offset 0
		.amdhsa_system_sgpr_workgroup_id_x 1
		.amdhsa_system_sgpr_workgroup_id_y 0
		.amdhsa_system_sgpr_workgroup_id_z 0
		.amdhsa_system_sgpr_workgroup_info 0
		.amdhsa_system_vgpr_workitem_id 0
		.amdhsa_next_free_vgpr 8
		.amdhsa_next_free_sgpr 7
		.amdhsa_reserve_vcc 1
		.amdhsa_reserve_flat_scratch 0
		.amdhsa_float_round_mode_32 0
		.amdhsa_float_round_mode_16_64 0
		.amdhsa_float_denorm_mode_32 3
		.amdhsa_float_denorm_mode_16_64 3
		.amdhsa_dx10_clamp 1
		.amdhsa_ieee_mode 1
		.amdhsa_fp16_overflow 0
		.amdhsa_exception_fp_ieee_invalid_op 0
		.amdhsa_exception_fp_denorm_src 0
		.amdhsa_exception_fp_ieee_div_zero 0
		.amdhsa_exception_fp_ieee_overflow 0
		.amdhsa_exception_fp_ieee_underflow 0
		.amdhsa_exception_fp_ieee_inexact 0
		.amdhsa_exception_int_div_zero 0
	.end_amdhsa_kernel
	.section	.text._ZL15unary_op_kernelIXadL_ZL6op_expfEEfEvPKT0_PS0_i,"axG",@progbits,_ZL15unary_op_kernelIXadL_ZL6op_expfEEfEvPKT0_PS0_i,comdat
.Lfunc_end27:
	.size	_ZL15unary_op_kernelIXadL_ZL6op_expfEEfEvPKT0_PS0_i, .Lfunc_end27-_ZL15unary_op_kernelIXadL_ZL6op_expfEEfEvPKT0_PS0_i
                                        ; -- End function
	.set _ZL15unary_op_kernelIXadL_ZL6op_expfEEfEvPKT0_PS0_i.num_vgpr, 8
	.set _ZL15unary_op_kernelIXadL_ZL6op_expfEEfEvPKT0_PS0_i.num_agpr, 0
	.set _ZL15unary_op_kernelIXadL_ZL6op_expfEEfEvPKT0_PS0_i.numbered_sgpr, 7
	.set _ZL15unary_op_kernelIXadL_ZL6op_expfEEfEvPKT0_PS0_i.num_named_barrier, 0
	.set _ZL15unary_op_kernelIXadL_ZL6op_expfEEfEvPKT0_PS0_i.private_seg_size, 0
	.set _ZL15unary_op_kernelIXadL_ZL6op_expfEEfEvPKT0_PS0_i.uses_vcc, 1
	.set _ZL15unary_op_kernelIXadL_ZL6op_expfEEfEvPKT0_PS0_i.uses_flat_scratch, 0
	.set _ZL15unary_op_kernelIXadL_ZL6op_expfEEfEvPKT0_PS0_i.has_dyn_sized_stack, 0
	.set _ZL15unary_op_kernelIXadL_ZL6op_expfEEfEvPKT0_PS0_i.has_recursion, 0
	.set _ZL15unary_op_kernelIXadL_ZL6op_expfEEfEvPKT0_PS0_i.has_indirect_call, 0
	.section	.AMDGPU.csdata,"",@progbits
; Kernel info:
; codeLenInByte = 220
; TotalNumSgprs: 11
; NumVgprs: 8
; ScratchSize: 0
; MemoryBound: 0
; FloatMode: 240
; IeeeMode: 1
; LDSByteSize: 0 bytes/workgroup (compile time only)
; SGPRBlocks: 1
; VGPRBlocks: 1
; NumSGPRsForWavesPerEU: 11
; NumVGPRsForWavesPerEU: 8
; Occupancy: 10
; WaveLimiterHint : 0
; COMPUTE_PGM_RSRC2:SCRATCH_EN: 0
; COMPUTE_PGM_RSRC2:USER_SGPR: 6
; COMPUTE_PGM_RSRC2:TRAP_HANDLER: 0
; COMPUTE_PGM_RSRC2:TGID_X_EN: 1
; COMPUTE_PGM_RSRC2:TGID_Y_EN: 0
; COMPUTE_PGM_RSRC2:TGID_Z_EN: 0
; COMPUTE_PGM_RSRC2:TIDIG_COMP_CNT: 0
	.section	.text._ZL15unary_op_kernelIXadL_ZL6op_sqrfEE6__halfEvPKT0_PS1_i,"axG",@progbits,_ZL15unary_op_kernelIXadL_ZL6op_sqrfEE6__halfEvPKT0_PS1_i,comdat
	.globl	_ZL15unary_op_kernelIXadL_ZL6op_sqrfEE6__halfEvPKT0_PS1_i ; -- Begin function _ZL15unary_op_kernelIXadL_ZL6op_sqrfEE6__halfEvPKT0_PS1_i
	.p2align	8
	.type	_ZL15unary_op_kernelIXadL_ZL6op_sqrfEE6__halfEvPKT0_PS1_i,@function
_ZL15unary_op_kernelIXadL_ZL6op_sqrfEE6__halfEvPKT0_PS1_i: ; @_ZL15unary_op_kernelIXadL_ZL6op_sqrfEE6__halfEvPKT0_PS1_i
; %bb.0:
	s_load_dword s0, s[4:5], 0x24
	s_load_dword s1, s[4:5], 0x10
	s_waitcnt lgkmcnt(0)
	s_and_b32 s0, s0, 0xffff
	s_mul_i32 s6, s6, s0
	v_add_u32_e32 v0, s6, v0
	v_cmp_gt_i32_e32 vcc, s1, v0
	s_and_saveexec_b64 s[0:1], vcc
	s_cbranch_execz .LBB28_2
; %bb.1:
	s_load_dwordx4 s[0:3], s[4:5], 0x0
	v_ashrrev_i32_e32 v1, 31, v0
	v_lshlrev_b64 v[0:1], 1, v[0:1]
	s_waitcnt lgkmcnt(0)
	v_mov_b32_e32 v3, s1
	v_add_co_u32_e32 v2, vcc, s0, v0
	v_addc_co_u32_e32 v3, vcc, v3, v1, vcc
	global_load_ushort v2, v[2:3], off
	v_mov_b32_e32 v3, s3
	v_add_co_u32_e32 v0, vcc, s2, v0
	v_addc_co_u32_e32 v1, vcc, v3, v1, vcc
	s_waitcnt vmcnt(0)
	v_mul_f16_e32 v2, v2, v2
	global_store_short v[0:1], v2, off
.LBB28_2:
	s_endpgm
	.section	.rodata,"a",@progbits
	.p2align	6, 0x0
	.amdhsa_kernel _ZL15unary_op_kernelIXadL_ZL6op_sqrfEE6__halfEvPKT0_PS1_i
		.amdhsa_group_segment_fixed_size 0
		.amdhsa_private_segment_fixed_size 0
		.amdhsa_kernarg_size 280
		.amdhsa_user_sgpr_count 6
		.amdhsa_user_sgpr_private_segment_buffer 1
		.amdhsa_user_sgpr_dispatch_ptr 0
		.amdhsa_user_sgpr_queue_ptr 0
		.amdhsa_user_sgpr_kernarg_segment_ptr 1
		.amdhsa_user_sgpr_dispatch_id 0
		.amdhsa_user_sgpr_flat_scratch_init 0
		.amdhsa_user_sgpr_private_segment_size 0
		.amdhsa_uses_dynamic_stack 0
		.amdhsa_system_sgpr_private_segment_wavefront_offset 0
		.amdhsa_system_sgpr_workgroup_id_x 1
		.amdhsa_system_sgpr_workgroup_id_y 0
		.amdhsa_system_sgpr_workgroup_id_z 0
		.amdhsa_system_sgpr_workgroup_info 0
		.amdhsa_system_vgpr_workitem_id 0
		.amdhsa_next_free_vgpr 4
		.amdhsa_next_free_sgpr 7
		.amdhsa_reserve_vcc 1
		.amdhsa_reserve_flat_scratch 0
		.amdhsa_float_round_mode_32 0
		.amdhsa_float_round_mode_16_64 0
		.amdhsa_float_denorm_mode_32 3
		.amdhsa_float_denorm_mode_16_64 3
		.amdhsa_dx10_clamp 1
		.amdhsa_ieee_mode 1
		.amdhsa_fp16_overflow 0
		.amdhsa_exception_fp_ieee_invalid_op 0
		.amdhsa_exception_fp_denorm_src 0
		.amdhsa_exception_fp_ieee_div_zero 0
		.amdhsa_exception_fp_ieee_overflow 0
		.amdhsa_exception_fp_ieee_underflow 0
		.amdhsa_exception_fp_ieee_inexact 0
		.amdhsa_exception_int_div_zero 0
	.end_amdhsa_kernel
	.section	.text._ZL15unary_op_kernelIXadL_ZL6op_sqrfEE6__halfEvPKT0_PS1_i,"axG",@progbits,_ZL15unary_op_kernelIXadL_ZL6op_sqrfEE6__halfEvPKT0_PS1_i,comdat
.Lfunc_end28:
	.size	_ZL15unary_op_kernelIXadL_ZL6op_sqrfEE6__halfEvPKT0_PS1_i, .Lfunc_end28-_ZL15unary_op_kernelIXadL_ZL6op_sqrfEE6__halfEvPKT0_PS1_i
                                        ; -- End function
	.set _ZL15unary_op_kernelIXadL_ZL6op_sqrfEE6__halfEvPKT0_PS1_i.num_vgpr, 4
	.set _ZL15unary_op_kernelIXadL_ZL6op_sqrfEE6__halfEvPKT0_PS1_i.num_agpr, 0
	.set _ZL15unary_op_kernelIXadL_ZL6op_sqrfEE6__halfEvPKT0_PS1_i.numbered_sgpr, 7
	.set _ZL15unary_op_kernelIXadL_ZL6op_sqrfEE6__halfEvPKT0_PS1_i.num_named_barrier, 0
	.set _ZL15unary_op_kernelIXadL_ZL6op_sqrfEE6__halfEvPKT0_PS1_i.private_seg_size, 0
	.set _ZL15unary_op_kernelIXadL_ZL6op_sqrfEE6__halfEvPKT0_PS1_i.uses_vcc, 1
	.set _ZL15unary_op_kernelIXadL_ZL6op_sqrfEE6__halfEvPKT0_PS1_i.uses_flat_scratch, 0
	.set _ZL15unary_op_kernelIXadL_ZL6op_sqrfEE6__halfEvPKT0_PS1_i.has_dyn_sized_stack, 0
	.set _ZL15unary_op_kernelIXadL_ZL6op_sqrfEE6__halfEvPKT0_PS1_i.has_recursion, 0
	.set _ZL15unary_op_kernelIXadL_ZL6op_sqrfEE6__halfEvPKT0_PS1_i.has_indirect_call, 0
	.section	.AMDGPU.csdata,"",@progbits
; Kernel info:
; codeLenInByte = 124
; TotalNumSgprs: 11
; NumVgprs: 4
; ScratchSize: 0
; MemoryBound: 0
; FloatMode: 240
; IeeeMode: 1
; LDSByteSize: 0 bytes/workgroup (compile time only)
; SGPRBlocks: 1
; VGPRBlocks: 0
; NumSGPRsForWavesPerEU: 11
; NumVGPRsForWavesPerEU: 4
; Occupancy: 10
; WaveLimiterHint : 0
; COMPUTE_PGM_RSRC2:SCRATCH_EN: 0
; COMPUTE_PGM_RSRC2:USER_SGPR: 6
; COMPUTE_PGM_RSRC2:TRAP_HANDLER: 0
; COMPUTE_PGM_RSRC2:TGID_X_EN: 1
; COMPUTE_PGM_RSRC2:TGID_Y_EN: 0
; COMPUTE_PGM_RSRC2:TGID_Z_EN: 0
; COMPUTE_PGM_RSRC2:TIDIG_COMP_CNT: 0
	.section	.text._ZL15unary_op_kernelIXadL_ZL6op_sqrfEEfEvPKT0_PS0_i,"axG",@progbits,_ZL15unary_op_kernelIXadL_ZL6op_sqrfEEfEvPKT0_PS0_i,comdat
	.globl	_ZL15unary_op_kernelIXadL_ZL6op_sqrfEEfEvPKT0_PS0_i ; -- Begin function _ZL15unary_op_kernelIXadL_ZL6op_sqrfEEfEvPKT0_PS0_i
	.p2align	8
	.type	_ZL15unary_op_kernelIXadL_ZL6op_sqrfEEfEvPKT0_PS0_i,@function
_ZL15unary_op_kernelIXadL_ZL6op_sqrfEEfEvPKT0_PS0_i: ; @_ZL15unary_op_kernelIXadL_ZL6op_sqrfEEfEvPKT0_PS0_i
; %bb.0:
	s_load_dword s0, s[4:5], 0x24
	s_load_dword s1, s[4:5], 0x10
	s_waitcnt lgkmcnt(0)
	s_and_b32 s0, s0, 0xffff
	s_mul_i32 s6, s6, s0
	v_add_u32_e32 v0, s6, v0
	v_cmp_gt_i32_e32 vcc, s1, v0
	s_and_saveexec_b64 s[0:1], vcc
	s_cbranch_execz .LBB29_2
; %bb.1:
	s_load_dwordx4 s[0:3], s[4:5], 0x0
	v_ashrrev_i32_e32 v1, 31, v0
	v_lshlrev_b64 v[0:1], 2, v[0:1]
	s_waitcnt lgkmcnt(0)
	v_mov_b32_e32 v3, s1
	v_add_co_u32_e32 v2, vcc, s0, v0
	v_addc_co_u32_e32 v3, vcc, v3, v1, vcc
	global_load_dword v2, v[2:3], off
	v_mov_b32_e32 v3, s3
	v_add_co_u32_e32 v0, vcc, s2, v0
	v_addc_co_u32_e32 v1, vcc, v3, v1, vcc
	s_waitcnt vmcnt(0)
	v_mul_f32_e32 v2, v2, v2
	global_store_dword v[0:1], v2, off
.LBB29_2:
	s_endpgm
	.section	.rodata,"a",@progbits
	.p2align	6, 0x0
	.amdhsa_kernel _ZL15unary_op_kernelIXadL_ZL6op_sqrfEEfEvPKT0_PS0_i
		.amdhsa_group_segment_fixed_size 0
		.amdhsa_private_segment_fixed_size 0
		.amdhsa_kernarg_size 280
		.amdhsa_user_sgpr_count 6
		.amdhsa_user_sgpr_private_segment_buffer 1
		.amdhsa_user_sgpr_dispatch_ptr 0
		.amdhsa_user_sgpr_queue_ptr 0
		.amdhsa_user_sgpr_kernarg_segment_ptr 1
		.amdhsa_user_sgpr_dispatch_id 0
		.amdhsa_user_sgpr_flat_scratch_init 0
		.amdhsa_user_sgpr_private_segment_size 0
		.amdhsa_uses_dynamic_stack 0
		.amdhsa_system_sgpr_private_segment_wavefront_offset 0
		.amdhsa_system_sgpr_workgroup_id_x 1
		.amdhsa_system_sgpr_workgroup_id_y 0
		.amdhsa_system_sgpr_workgroup_id_z 0
		.amdhsa_system_sgpr_workgroup_info 0
		.amdhsa_system_vgpr_workitem_id 0
		.amdhsa_next_free_vgpr 4
		.amdhsa_next_free_sgpr 7
		.amdhsa_reserve_vcc 1
		.amdhsa_reserve_flat_scratch 0
		.amdhsa_float_round_mode_32 0
		.amdhsa_float_round_mode_16_64 0
		.amdhsa_float_denorm_mode_32 3
		.amdhsa_float_denorm_mode_16_64 3
		.amdhsa_dx10_clamp 1
		.amdhsa_ieee_mode 1
		.amdhsa_fp16_overflow 0
		.amdhsa_exception_fp_ieee_invalid_op 0
		.amdhsa_exception_fp_denorm_src 0
		.amdhsa_exception_fp_ieee_div_zero 0
		.amdhsa_exception_fp_ieee_overflow 0
		.amdhsa_exception_fp_ieee_underflow 0
		.amdhsa_exception_fp_ieee_inexact 0
		.amdhsa_exception_int_div_zero 0
	.end_amdhsa_kernel
	.section	.text._ZL15unary_op_kernelIXadL_ZL6op_sqrfEEfEvPKT0_PS0_i,"axG",@progbits,_ZL15unary_op_kernelIXadL_ZL6op_sqrfEEfEvPKT0_PS0_i,comdat
.Lfunc_end29:
	.size	_ZL15unary_op_kernelIXadL_ZL6op_sqrfEEfEvPKT0_PS0_i, .Lfunc_end29-_ZL15unary_op_kernelIXadL_ZL6op_sqrfEEfEvPKT0_PS0_i
                                        ; -- End function
	.set _ZL15unary_op_kernelIXadL_ZL6op_sqrfEEfEvPKT0_PS0_i.num_vgpr, 4
	.set _ZL15unary_op_kernelIXadL_ZL6op_sqrfEEfEvPKT0_PS0_i.num_agpr, 0
	.set _ZL15unary_op_kernelIXadL_ZL6op_sqrfEEfEvPKT0_PS0_i.numbered_sgpr, 7
	.set _ZL15unary_op_kernelIXadL_ZL6op_sqrfEEfEvPKT0_PS0_i.num_named_barrier, 0
	.set _ZL15unary_op_kernelIXadL_ZL6op_sqrfEEfEvPKT0_PS0_i.private_seg_size, 0
	.set _ZL15unary_op_kernelIXadL_ZL6op_sqrfEEfEvPKT0_PS0_i.uses_vcc, 1
	.set _ZL15unary_op_kernelIXadL_ZL6op_sqrfEEfEvPKT0_PS0_i.uses_flat_scratch, 0
	.set _ZL15unary_op_kernelIXadL_ZL6op_sqrfEEfEvPKT0_PS0_i.has_dyn_sized_stack, 0
	.set _ZL15unary_op_kernelIXadL_ZL6op_sqrfEEfEvPKT0_PS0_i.has_recursion, 0
	.set _ZL15unary_op_kernelIXadL_ZL6op_sqrfEEfEvPKT0_PS0_i.has_indirect_call, 0
	.section	.AMDGPU.csdata,"",@progbits
; Kernel info:
; codeLenInByte = 124
; TotalNumSgprs: 11
; NumVgprs: 4
; ScratchSize: 0
; MemoryBound: 0
; FloatMode: 240
; IeeeMode: 1
; LDSByteSize: 0 bytes/workgroup (compile time only)
; SGPRBlocks: 1
; VGPRBlocks: 0
; NumSGPRsForWavesPerEU: 11
; NumVGPRsForWavesPerEU: 4
; Occupancy: 10
; WaveLimiterHint : 0
; COMPUTE_PGM_RSRC2:SCRATCH_EN: 0
; COMPUTE_PGM_RSRC2:USER_SGPR: 6
; COMPUTE_PGM_RSRC2:TRAP_HANDLER: 0
; COMPUTE_PGM_RSRC2:TGID_X_EN: 1
; COMPUTE_PGM_RSRC2:TGID_Y_EN: 0
; COMPUTE_PGM_RSRC2:TGID_Z_EN: 0
; COMPUTE_PGM_RSRC2:TIDIG_COMP_CNT: 0
	.section	.text._ZL15unary_op_kernelIXadL_ZL7op_sqrtfEE6__halfEvPKT0_PS1_i,"axG",@progbits,_ZL15unary_op_kernelIXadL_ZL7op_sqrtfEE6__halfEvPKT0_PS1_i,comdat
	.globl	_ZL15unary_op_kernelIXadL_ZL7op_sqrtfEE6__halfEvPKT0_PS1_i ; -- Begin function _ZL15unary_op_kernelIXadL_ZL7op_sqrtfEE6__halfEvPKT0_PS1_i
	.p2align	8
	.type	_ZL15unary_op_kernelIXadL_ZL7op_sqrtfEE6__halfEvPKT0_PS1_i,@function
_ZL15unary_op_kernelIXadL_ZL7op_sqrtfEE6__halfEvPKT0_PS1_i: ; @_ZL15unary_op_kernelIXadL_ZL7op_sqrtfEE6__halfEvPKT0_PS1_i
; %bb.0:
	s_load_dword s0, s[4:5], 0x24
	s_load_dword s1, s[4:5], 0x10
	s_waitcnt lgkmcnt(0)
	s_and_b32 s0, s0, 0xffff
	s_mul_i32 s6, s6, s0
	v_add_u32_e32 v0, s6, v0
	v_cmp_gt_i32_e32 vcc, s1, v0
	s_and_saveexec_b64 s[0:1], vcc
	s_cbranch_execz .LBB30_2
; %bb.1:
	s_load_dwordx4 s[0:3], s[4:5], 0x0
	v_ashrrev_i32_e32 v1, 31, v0
	v_lshlrev_b64 v[0:1], 1, v[0:1]
	v_mov_b32_e32 v4, 0x260
	s_waitcnt lgkmcnt(0)
	v_mov_b32_e32 v3, s1
	v_add_co_u32_e32 v2, vcc, s0, v0
	v_addc_co_u32_e32 v3, vcc, v3, v1, vcc
	global_load_ushort v2, v[2:3], off
	s_mov_b32 s0, 0xf800000
	v_mov_b32_e32 v5, s3
	s_waitcnt vmcnt(0)
	v_cvt_f32_f16_e32 v2, v2
	v_mul_f32_e32 v3, 0x4f800000, v2
	v_cmp_gt_f32_e32 vcc, s0, v2
	v_cndmask_b32_e32 v2, v2, v3, vcc
	v_rsq_f32_e32 v3, v2
	v_mul_f32_e32 v6, v2, v3
	v_mul_f32_e32 v3, 0.5, v3
	v_fma_f32 v7, -v3, v6, 0.5
	v_fmac_f32_e32 v6, v6, v7
	v_fmac_f32_e32 v3, v3, v7
	v_fma_f32 v7, -v6, v6, v2
	v_fmac_f32_e32 v6, v7, v3
	v_mul_f32_e32 v3, 0x37800000, v6
	v_cndmask_b32_e32 v3, v6, v3, vcc
	v_cmp_class_f32_e32 vcc, v2, v4
	v_cndmask_b32_e32 v2, v3, v2, vcc
	v_cvt_f16_f32_e32 v2, v2
	v_add_co_u32_e32 v0, vcc, s2, v0
	v_addc_co_u32_e32 v1, vcc, v5, v1, vcc
	global_store_short v[0:1], v2, off
.LBB30_2:
	s_endpgm
	.section	.rodata,"a",@progbits
	.p2align	6, 0x0
	.amdhsa_kernel _ZL15unary_op_kernelIXadL_ZL7op_sqrtfEE6__halfEvPKT0_PS1_i
		.amdhsa_group_segment_fixed_size 0
		.amdhsa_private_segment_fixed_size 0
		.amdhsa_kernarg_size 280
		.amdhsa_user_sgpr_count 6
		.amdhsa_user_sgpr_private_segment_buffer 1
		.amdhsa_user_sgpr_dispatch_ptr 0
		.amdhsa_user_sgpr_queue_ptr 0
		.amdhsa_user_sgpr_kernarg_segment_ptr 1
		.amdhsa_user_sgpr_dispatch_id 0
		.amdhsa_user_sgpr_flat_scratch_init 0
		.amdhsa_user_sgpr_private_segment_size 0
		.amdhsa_uses_dynamic_stack 0
		.amdhsa_system_sgpr_private_segment_wavefront_offset 0
		.amdhsa_system_sgpr_workgroup_id_x 1
		.amdhsa_system_sgpr_workgroup_id_y 0
		.amdhsa_system_sgpr_workgroup_id_z 0
		.amdhsa_system_sgpr_workgroup_info 0
		.amdhsa_system_vgpr_workitem_id 0
		.amdhsa_next_free_vgpr 8
		.amdhsa_next_free_sgpr 7
		.amdhsa_reserve_vcc 1
		.amdhsa_reserve_flat_scratch 0
		.amdhsa_float_round_mode_32 0
		.amdhsa_float_round_mode_16_64 0
		.amdhsa_float_denorm_mode_32 3
		.amdhsa_float_denorm_mode_16_64 3
		.amdhsa_dx10_clamp 1
		.amdhsa_ieee_mode 1
		.amdhsa_fp16_overflow 0
		.amdhsa_exception_fp_ieee_invalid_op 0
		.amdhsa_exception_fp_denorm_src 0
		.amdhsa_exception_fp_ieee_div_zero 0
		.amdhsa_exception_fp_ieee_overflow 0
		.amdhsa_exception_fp_ieee_underflow 0
		.amdhsa_exception_fp_ieee_inexact 0
		.amdhsa_exception_int_div_zero 0
	.end_amdhsa_kernel
	.section	.text._ZL15unary_op_kernelIXadL_ZL7op_sqrtfEE6__halfEvPKT0_PS1_i,"axG",@progbits,_ZL15unary_op_kernelIXadL_ZL7op_sqrtfEE6__halfEvPKT0_PS1_i,comdat
.Lfunc_end30:
	.size	_ZL15unary_op_kernelIXadL_ZL7op_sqrtfEE6__halfEvPKT0_PS1_i, .Lfunc_end30-_ZL15unary_op_kernelIXadL_ZL7op_sqrtfEE6__halfEvPKT0_PS1_i
                                        ; -- End function
	.set _ZL15unary_op_kernelIXadL_ZL7op_sqrtfEE6__halfEvPKT0_PS1_i.num_vgpr, 8
	.set _ZL15unary_op_kernelIXadL_ZL7op_sqrtfEE6__halfEvPKT0_PS1_i.num_agpr, 0
	.set _ZL15unary_op_kernelIXadL_ZL7op_sqrtfEE6__halfEvPKT0_PS1_i.numbered_sgpr, 7
	.set _ZL15unary_op_kernelIXadL_ZL7op_sqrtfEE6__halfEvPKT0_PS1_i.num_named_barrier, 0
	.set _ZL15unary_op_kernelIXadL_ZL7op_sqrtfEE6__halfEvPKT0_PS1_i.private_seg_size, 0
	.set _ZL15unary_op_kernelIXadL_ZL7op_sqrtfEE6__halfEvPKT0_PS1_i.uses_vcc, 1
	.set _ZL15unary_op_kernelIXadL_ZL7op_sqrtfEE6__halfEvPKT0_PS1_i.uses_flat_scratch, 0
	.set _ZL15unary_op_kernelIXadL_ZL7op_sqrtfEE6__halfEvPKT0_PS1_i.has_dyn_sized_stack, 0
	.set _ZL15unary_op_kernelIXadL_ZL7op_sqrtfEE6__halfEvPKT0_PS1_i.has_recursion, 0
	.set _ZL15unary_op_kernelIXadL_ZL7op_sqrtfEE6__halfEvPKT0_PS1_i.has_indirect_call, 0
	.section	.AMDGPU.csdata,"",@progbits
; Kernel info:
; codeLenInByte = 220
; TotalNumSgprs: 11
; NumVgprs: 8
; ScratchSize: 0
; MemoryBound: 0
; FloatMode: 240
; IeeeMode: 1
; LDSByteSize: 0 bytes/workgroup (compile time only)
; SGPRBlocks: 1
; VGPRBlocks: 1
; NumSGPRsForWavesPerEU: 11
; NumVGPRsForWavesPerEU: 8
; Occupancy: 10
; WaveLimiterHint : 0
; COMPUTE_PGM_RSRC2:SCRATCH_EN: 0
; COMPUTE_PGM_RSRC2:USER_SGPR: 6
; COMPUTE_PGM_RSRC2:TRAP_HANDLER: 0
; COMPUTE_PGM_RSRC2:TGID_X_EN: 1
; COMPUTE_PGM_RSRC2:TGID_Y_EN: 0
; COMPUTE_PGM_RSRC2:TGID_Z_EN: 0
; COMPUTE_PGM_RSRC2:TIDIG_COMP_CNT: 0
	.section	.text._ZL15unary_op_kernelIXadL_ZL7op_sqrtfEEfEvPKT0_PS0_i,"axG",@progbits,_ZL15unary_op_kernelIXadL_ZL7op_sqrtfEEfEvPKT0_PS0_i,comdat
	.globl	_ZL15unary_op_kernelIXadL_ZL7op_sqrtfEEfEvPKT0_PS0_i ; -- Begin function _ZL15unary_op_kernelIXadL_ZL7op_sqrtfEEfEvPKT0_PS0_i
	.p2align	8
	.type	_ZL15unary_op_kernelIXadL_ZL7op_sqrtfEEfEvPKT0_PS0_i,@function
_ZL15unary_op_kernelIXadL_ZL7op_sqrtfEEfEvPKT0_PS0_i: ; @_ZL15unary_op_kernelIXadL_ZL7op_sqrtfEEfEvPKT0_PS0_i
; %bb.0:
	s_load_dword s0, s[4:5], 0x24
	s_load_dword s1, s[4:5], 0x10
	s_waitcnt lgkmcnt(0)
	s_and_b32 s0, s0, 0xffff
	s_mul_i32 s6, s6, s0
	v_add_u32_e32 v0, s6, v0
	v_cmp_gt_i32_e32 vcc, s1, v0
	s_and_saveexec_b64 s[0:1], vcc
	s_cbranch_execz .LBB31_2
; %bb.1:
	s_load_dwordx4 s[0:3], s[4:5], 0x0
	v_ashrrev_i32_e32 v1, 31, v0
	v_lshlrev_b64 v[0:1], 2, v[0:1]
	s_waitcnt lgkmcnt(0)
	v_mov_b32_e32 v3, s1
	v_add_co_u32_e32 v2, vcc, s0, v0
	v_addc_co_u32_e32 v3, vcc, v3, v1, vcc
	global_load_dword v2, v[2:3], off
	s_mov_b32 s0, 0xf800000
	v_mov_b32_e32 v4, s3
	v_mov_b32_e32 v3, 0x260
	s_waitcnt vmcnt(0)
	v_mul_f32_e32 v5, 0x4f800000, v2
	v_cmp_gt_f32_e32 vcc, s0, v2
	v_cndmask_b32_e32 v2, v2, v5, vcc
	v_sqrt_f32_e32 v5, v2
	v_add_co_u32_e64 v0, s[0:1], s2, v0
	v_addc_co_u32_e64 v1, s[0:1], v4, v1, s[0:1]
	v_add_u32_e32 v4, -1, v5
	v_add_u32_e32 v6, 1, v5
	v_fma_f32 v7, -v4, v5, v2
	v_fma_f32 v8, -v6, v5, v2
	v_cmp_ge_f32_e64 s[0:1], 0, v7
	v_cndmask_b32_e64 v4, v5, v4, s[0:1]
	v_cmp_lt_f32_e64 s[0:1], 0, v8
	v_cndmask_b32_e64 v4, v4, v6, s[0:1]
	v_mul_f32_e32 v5, 0x37800000, v4
	v_cndmask_b32_e32 v4, v4, v5, vcc
	v_cmp_class_f32_e32 vcc, v2, v3
	v_cndmask_b32_e32 v2, v4, v2, vcc
	global_store_dword v[0:1], v2, off
.LBB31_2:
	s_endpgm
	.section	.rodata,"a",@progbits
	.p2align	6, 0x0
	.amdhsa_kernel _ZL15unary_op_kernelIXadL_ZL7op_sqrtfEEfEvPKT0_PS0_i
		.amdhsa_group_segment_fixed_size 0
		.amdhsa_private_segment_fixed_size 0
		.amdhsa_kernarg_size 280
		.amdhsa_user_sgpr_count 6
		.amdhsa_user_sgpr_private_segment_buffer 1
		.amdhsa_user_sgpr_dispatch_ptr 0
		.amdhsa_user_sgpr_queue_ptr 0
		.amdhsa_user_sgpr_kernarg_segment_ptr 1
		.amdhsa_user_sgpr_dispatch_id 0
		.amdhsa_user_sgpr_flat_scratch_init 0
		.amdhsa_user_sgpr_private_segment_size 0
		.amdhsa_uses_dynamic_stack 0
		.amdhsa_system_sgpr_private_segment_wavefront_offset 0
		.amdhsa_system_sgpr_workgroup_id_x 1
		.amdhsa_system_sgpr_workgroup_id_y 0
		.amdhsa_system_sgpr_workgroup_id_z 0
		.amdhsa_system_sgpr_workgroup_info 0
		.amdhsa_system_vgpr_workitem_id 0
		.amdhsa_next_free_vgpr 9
		.amdhsa_next_free_sgpr 7
		.amdhsa_reserve_vcc 1
		.amdhsa_reserve_flat_scratch 0
		.amdhsa_float_round_mode_32 0
		.amdhsa_float_round_mode_16_64 0
		.amdhsa_float_denorm_mode_32 3
		.amdhsa_float_denorm_mode_16_64 3
		.amdhsa_dx10_clamp 1
		.amdhsa_ieee_mode 1
		.amdhsa_fp16_overflow 0
		.amdhsa_exception_fp_ieee_invalid_op 0
		.amdhsa_exception_fp_denorm_src 0
		.amdhsa_exception_fp_ieee_div_zero 0
		.amdhsa_exception_fp_ieee_overflow 0
		.amdhsa_exception_fp_ieee_underflow 0
		.amdhsa_exception_fp_ieee_inexact 0
		.amdhsa_exception_int_div_zero 0
	.end_amdhsa_kernel
	.section	.text._ZL15unary_op_kernelIXadL_ZL7op_sqrtfEEfEvPKT0_PS0_i,"axG",@progbits,_ZL15unary_op_kernelIXadL_ZL7op_sqrtfEEfEvPKT0_PS0_i,comdat
.Lfunc_end31:
	.size	_ZL15unary_op_kernelIXadL_ZL7op_sqrtfEEfEvPKT0_PS0_i, .Lfunc_end31-_ZL15unary_op_kernelIXadL_ZL7op_sqrtfEEfEvPKT0_PS0_i
                                        ; -- End function
	.set _ZL15unary_op_kernelIXadL_ZL7op_sqrtfEEfEvPKT0_PS0_i.num_vgpr, 9
	.set _ZL15unary_op_kernelIXadL_ZL7op_sqrtfEEfEvPKT0_PS0_i.num_agpr, 0
	.set _ZL15unary_op_kernelIXadL_ZL7op_sqrtfEEfEvPKT0_PS0_i.numbered_sgpr, 7
	.set _ZL15unary_op_kernelIXadL_ZL7op_sqrtfEEfEvPKT0_PS0_i.num_named_barrier, 0
	.set _ZL15unary_op_kernelIXadL_ZL7op_sqrtfEEfEvPKT0_PS0_i.private_seg_size, 0
	.set _ZL15unary_op_kernelIXadL_ZL7op_sqrtfEEfEvPKT0_PS0_i.uses_vcc, 1
	.set _ZL15unary_op_kernelIXadL_ZL7op_sqrtfEEfEvPKT0_PS0_i.uses_flat_scratch, 0
	.set _ZL15unary_op_kernelIXadL_ZL7op_sqrtfEEfEvPKT0_PS0_i.has_dyn_sized_stack, 0
	.set _ZL15unary_op_kernelIXadL_ZL7op_sqrtfEEfEvPKT0_PS0_i.has_recursion, 0
	.set _ZL15unary_op_kernelIXadL_ZL7op_sqrtfEEfEvPKT0_PS0_i.has_indirect_call, 0
	.section	.AMDGPU.csdata,"",@progbits
; Kernel info:
; codeLenInByte = 240
; TotalNumSgprs: 11
; NumVgprs: 9
; ScratchSize: 0
; MemoryBound: 0
; FloatMode: 240
; IeeeMode: 1
; LDSByteSize: 0 bytes/workgroup (compile time only)
; SGPRBlocks: 1
; VGPRBlocks: 2
; NumSGPRsForWavesPerEU: 11
; NumVGPRsForWavesPerEU: 9
; Occupancy: 10
; WaveLimiterHint : 0
; COMPUTE_PGM_RSRC2:SCRATCH_EN: 0
; COMPUTE_PGM_RSRC2:USER_SGPR: 6
; COMPUTE_PGM_RSRC2:TRAP_HANDLER: 0
; COMPUTE_PGM_RSRC2:TGID_X_EN: 1
; COMPUTE_PGM_RSRC2:TGID_Y_EN: 0
; COMPUTE_PGM_RSRC2:TGID_Z_EN: 0
; COMPUTE_PGM_RSRC2:TIDIG_COMP_CNT: 0
	.section	.text._ZL15unary_op_kernelIXadL_ZL6op_sinfEE6__halfEvPKT0_PS1_i,"axG",@progbits,_ZL15unary_op_kernelIXadL_ZL6op_sinfEE6__halfEvPKT0_PS1_i,comdat
	.globl	_ZL15unary_op_kernelIXadL_ZL6op_sinfEE6__halfEvPKT0_PS1_i ; -- Begin function _ZL15unary_op_kernelIXadL_ZL6op_sinfEE6__halfEvPKT0_PS1_i
	.p2align	8
	.type	_ZL15unary_op_kernelIXadL_ZL6op_sinfEE6__halfEvPKT0_PS1_i,@function
_ZL15unary_op_kernelIXadL_ZL6op_sinfEE6__halfEvPKT0_PS1_i: ; @_ZL15unary_op_kernelIXadL_ZL6op_sinfEE6__halfEvPKT0_PS1_i
; %bb.0:
	s_load_dword s0, s[4:5], 0x24
	s_load_dword s1, s[4:5], 0x10
	s_waitcnt lgkmcnt(0)
	s_and_b32 s0, s0, 0xffff
	s_mul_i32 s6, s6, s0
	v_add_u32_e32 v0, s6, v0
	v_cmp_gt_i32_e32 vcc, s1, v0
	s_and_saveexec_b64 s[0:1], vcc
	s_cbranch_execz .LBB32_6
; %bb.1:
	s_load_dwordx4 s[4:7], s[4:5], 0x0
	v_ashrrev_i32_e32 v1, 31, v0
	v_lshlrev_b64 v[0:1], 1, v[0:1]
	s_brev_b32 s0, 18
                                        ; implicit-def: $vgpr4
                                        ; implicit-def: $vgpr5
	s_waitcnt lgkmcnt(0)
	v_mov_b32_e32 v3, s5
	v_add_co_u32_e32 v2, vcc, s4, v0
	v_addc_co_u32_e32 v3, vcc, v3, v1, vcc
	global_load_ushort v2, v[2:3], off
	s_waitcnt vmcnt(0)
	v_cvt_f32_f16_e32 v2, v2
	v_and_b32_e32 v3, 0x7fffffff, v2
	v_cmp_nlt_f32_e64 s[0:1], |v2|, s0
	s_and_saveexec_b64 s[2:3], s[0:1]
	s_xor_b64 s[8:9], exec, s[2:3]
	s_cbranch_execz .LBB32_3
; %bb.2:
	v_and_b32_e32 v4, 0x7fffff, v3
	v_or_b32_e32 v13, 0x800000, v4
	s_mov_b32 s0, 0xfe5163ab
	v_mad_u64_u32 v[4:5], s[0:1], v13, s0, 0
	v_mov_b32_e32 v6, 0
	s_mov_b32 s0, 0x3c439041
	v_mad_u64_u32 v[7:8], s[0:1], v13, s0, v[5:6]
	s_mov_b32 s0, 0xdb629599
	v_not_b32_e32 v12, 63
	v_mov_b32_e32 v5, v8
	v_mad_u64_u32 v[8:9], s[0:1], v13, s0, v[5:6]
	s_mov_b32 s0, 0xf534ddc0
	v_not_b32_e32 v15, 31
	v_mov_b32_e32 v5, v9
	v_mad_u64_u32 v[9:10], s[0:1], v13, s0, v[5:6]
	v_lshrrev_b32_e32 v5, 23, v3
	v_add_u32_e32 v14, 0xffffff88, v5
	v_mov_b32_e32 v5, v10
	s_mov_b32 s0, 0xfc2757d1
	v_mad_u64_u32 v[10:11], s[0:1], v13, s0, v[5:6]
	v_cmp_lt_u32_e32 vcc, 63, v14
	v_cndmask_b32_e32 v5, 0, v12, vcc
	v_add_u32_e32 v14, v5, v14
	v_mov_b32_e32 v5, v11
	s_mov_b32 s0, 0x4e441529
	v_mad_u64_u32 v[11:12], s[0:1], v13, s0, v[5:6]
	v_cmp_lt_u32_e64 s[0:1], 31, v14
	v_cndmask_b32_e64 v5, 0, v15, s[0:1]
	v_add_u32_e32 v14, v5, v14
	v_mov_b32_e32 v5, v12
	s_mov_b32 s2, 0xa2f9836e
	v_mad_u64_u32 v[5:6], s[2:3], v13, s2, v[5:6]
	v_cmp_lt_u32_e64 s[2:3], 31, v14
	v_cndmask_b32_e64 v12, 0, v15, s[2:3]
	v_cndmask_b32_e32 v13, v11, v9, vcc
	v_cndmask_b32_e32 v5, v5, v10, vcc
	;; [unrolled: 1-line block ×3, first 2 shown]
	v_add_u32_e32 v12, v12, v14
	v_cndmask_b32_e64 v14, v5, v13, s[0:1]
	v_cndmask_b32_e64 v5, v6, v5, s[0:1]
	v_cndmask_b32_e32 v6, v10, v8, vcc
	v_cndmask_b32_e64 v10, v13, v6, s[0:1]
	v_cndmask_b32_e64 v5, v5, v14, s[2:3]
	;; [unrolled: 1-line block ×3, first 2 shown]
	v_sub_u32_e32 v13, 32, v12
	v_alignbit_b32 v14, v5, v11, v13
	v_cmp_eq_u32_e64 s[4:5], 0, v12
	v_cndmask_b32_e64 v12, v14, v5, s[4:5]
	v_cndmask_b32_e32 v5, v9, v7, vcc
	v_cndmask_b32_e64 v6, v6, v5, s[0:1]
	v_cndmask_b32_e64 v7, v10, v6, s[2:3]
	v_alignbit_b32 v9, v11, v7, v13
	v_cndmask_b32_e32 v4, v8, v4, vcc
	v_cndmask_b32_e64 v9, v9, v11, s[4:5]
	v_bfe_u32 v14, v12, 29, 1
	v_cndmask_b32_e64 v4, v5, v4, s[0:1]
	v_alignbit_b32 v10, v12, v9, 30
	v_sub_u32_e32 v15, 0, v14
	v_cndmask_b32_e64 v4, v6, v4, s[2:3]
	v_xor_b32_e32 v10, v10, v15
	v_alignbit_b32 v5, v7, v4, v13
	v_cndmask_b32_e64 v5, v5, v7, s[4:5]
	v_ffbh_u32_e32 v7, v10
	v_alignbit_b32 v6, v9, v5, 30
	v_min_u32_e32 v7, 32, v7
	v_alignbit_b32 v4, v5, v4, 30
	v_xor_b32_e32 v6, v6, v15
	v_sub_u32_e32 v8, 31, v7
	v_xor_b32_e32 v4, v4, v15
	v_alignbit_b32 v9, v10, v6, v8
	v_alignbit_b32 v4, v6, v4, v8
	;; [unrolled: 1-line block ×3, first 2 shown]
	v_ffbh_u32_e32 v6, v5
	v_min_u32_e32 v6, 32, v6
	v_lshrrev_b32_e32 v11, 29, v12
	v_not_b32_e32 v8, v6
	v_alignbit_b32 v4, v5, v4, v8
	v_lshlrev_b32_e32 v5, 31, v11
	v_or_b32_e32 v8, 0x33000000, v5
	v_add_lshl_u32 v6, v6, v7, 23
	v_lshrrev_b32_e32 v4, 9, v4
	v_sub_u32_e32 v6, v8, v6
	v_or_b32_e32 v5, 0.5, v5
	v_lshlrev_b32_e32 v7, 23, v7
	v_or_b32_e32 v4, v6, v4
	v_lshrrev_b32_e32 v6, 9, v9
	v_sub_u32_e32 v5, v5, v7
	v_or_b32_e32 v5, v6, v5
	s_mov_b32 s0, 0x3fc90fda
	v_mul_f32_e32 v6, 0x3fc90fda, v5
	v_fma_f32 v7, v5, s0, -v6
	v_fmac_f32_e32 v7, 0x33a22168, v5
	v_fmac_f32_e32 v7, 0x3fc90fda, v4
	v_lshrrev_b32_e32 v4, 30, v12
	v_add_f32_e32 v5, v6, v7
	v_add_u32_e32 v4, v14, v4
.LBB32_3:
	s_andn2_saveexec_b64 s[0:1], s[8:9]
	s_cbranch_execz .LBB32_5
; %bb.4:
	s_mov_b32 s2, 0x3f22f983
	v_mul_f32_e64 v4, |v2|, s2
	v_rndne_f32_e32 v6, v4
	s_mov_b32 s2, 0xbfc90fda
	v_cvt_i32_f32_e32 v4, v6
	v_fma_f32 v5, v6, s2, |v2|
	v_fmac_f32_e32 v5, 0xb3a22168, v6
	v_fmac_f32_e32 v5, 0xa7c234c4, v6
.LBB32_5:
	s_or_b64 exec, exec, s[0:1]
	v_mul_f32_e32 v6, v5, v5
	v_mov_b32_e32 v7, 0x3c0881c4
	v_fmac_f32_e32 v7, 0xb94c1982, v6
	v_mov_b32_e32 v8, 0xbe2aaa9d
	v_fmac_f32_e32 v8, v6, v7
	v_mul_f32_e32 v7, v6, v8
	v_fmac_f32_e32 v5, v5, v7
	v_mov_b32_e32 v7, 0xbab64f3b
	v_fmac_f32_e32 v7, 0x37d75334, v6
	v_mov_b32_e32 v8, 0x3d2aabf7
	;; [unrolled: 2-line block ×3, first 2 shown]
	v_fmac_f32_e32 v7, v6, v8
	v_fma_f32 v6, v6, v7, 1.0
	v_and_b32_e32 v7, 1, v4
	v_lshlrev_b32_e32 v4, 30, v4
	v_cmp_eq_u32_e32 vcc, 0, v7
	v_and_b32_e32 v4, 0x80000000, v4
	v_xor_b32_e32 v3, v3, v2
	v_cndmask_b32_e32 v5, v6, v5, vcc
	v_xor_b32_e32 v3, v3, v4
	s_movk_i32 s0, 0x1f8
	v_xor_b32_e32 v3, v3, v5
	v_mov_b32_e32 v4, 0x7fc00000
	v_cmp_class_f32_e64 vcc, v2, s0
	v_cndmask_b32_e32 v2, v4, v3, vcc
	v_cvt_f16_f32_e32 v2, v2
	v_mov_b32_e32 v3, s7
	v_add_co_u32_e32 v0, vcc, s6, v0
	v_addc_co_u32_e32 v1, vcc, v3, v1, vcc
	global_store_short v[0:1], v2, off
.LBB32_6:
	s_endpgm
	.section	.rodata,"a",@progbits
	.p2align	6, 0x0
	.amdhsa_kernel _ZL15unary_op_kernelIXadL_ZL6op_sinfEE6__halfEvPKT0_PS1_i
		.amdhsa_group_segment_fixed_size 0
		.amdhsa_private_segment_fixed_size 0
		.amdhsa_kernarg_size 280
		.amdhsa_user_sgpr_count 6
		.amdhsa_user_sgpr_private_segment_buffer 1
		.amdhsa_user_sgpr_dispatch_ptr 0
		.amdhsa_user_sgpr_queue_ptr 0
		.amdhsa_user_sgpr_kernarg_segment_ptr 1
		.amdhsa_user_sgpr_dispatch_id 0
		.amdhsa_user_sgpr_flat_scratch_init 0
		.amdhsa_user_sgpr_private_segment_size 0
		.amdhsa_uses_dynamic_stack 0
		.amdhsa_system_sgpr_private_segment_wavefront_offset 0
		.amdhsa_system_sgpr_workgroup_id_x 1
		.amdhsa_system_sgpr_workgroup_id_y 0
		.amdhsa_system_sgpr_workgroup_id_z 0
		.amdhsa_system_sgpr_workgroup_info 0
		.amdhsa_system_vgpr_workitem_id 0
		.amdhsa_next_free_vgpr 16
		.amdhsa_next_free_sgpr 10
		.amdhsa_reserve_vcc 1
		.amdhsa_reserve_flat_scratch 0
		.amdhsa_float_round_mode_32 0
		.amdhsa_float_round_mode_16_64 0
		.amdhsa_float_denorm_mode_32 3
		.amdhsa_float_denorm_mode_16_64 3
		.amdhsa_dx10_clamp 1
		.amdhsa_ieee_mode 1
		.amdhsa_fp16_overflow 0
		.amdhsa_exception_fp_ieee_invalid_op 0
		.amdhsa_exception_fp_denorm_src 0
		.amdhsa_exception_fp_ieee_div_zero 0
		.amdhsa_exception_fp_ieee_overflow 0
		.amdhsa_exception_fp_ieee_underflow 0
		.amdhsa_exception_fp_ieee_inexact 0
		.amdhsa_exception_int_div_zero 0
	.end_amdhsa_kernel
	.section	.text._ZL15unary_op_kernelIXadL_ZL6op_sinfEE6__halfEvPKT0_PS1_i,"axG",@progbits,_ZL15unary_op_kernelIXadL_ZL6op_sinfEE6__halfEvPKT0_PS1_i,comdat
.Lfunc_end32:
	.size	_ZL15unary_op_kernelIXadL_ZL6op_sinfEE6__halfEvPKT0_PS1_i, .Lfunc_end32-_ZL15unary_op_kernelIXadL_ZL6op_sinfEE6__halfEvPKT0_PS1_i
                                        ; -- End function
	.set _ZL15unary_op_kernelIXadL_ZL6op_sinfEE6__halfEvPKT0_PS1_i.num_vgpr, 16
	.set _ZL15unary_op_kernelIXadL_ZL6op_sinfEE6__halfEvPKT0_PS1_i.num_agpr, 0
	.set _ZL15unary_op_kernelIXadL_ZL6op_sinfEE6__halfEvPKT0_PS1_i.numbered_sgpr, 10
	.set _ZL15unary_op_kernelIXadL_ZL6op_sinfEE6__halfEvPKT0_PS1_i.num_named_barrier, 0
	.set _ZL15unary_op_kernelIXadL_ZL6op_sinfEE6__halfEvPKT0_PS1_i.private_seg_size, 0
	.set _ZL15unary_op_kernelIXadL_ZL6op_sinfEE6__halfEvPKT0_PS1_i.uses_vcc, 1
	.set _ZL15unary_op_kernelIXadL_ZL6op_sinfEE6__halfEvPKT0_PS1_i.uses_flat_scratch, 0
	.set _ZL15unary_op_kernelIXadL_ZL6op_sinfEE6__halfEvPKT0_PS1_i.has_dyn_sized_stack, 0
	.set _ZL15unary_op_kernelIXadL_ZL6op_sinfEE6__halfEvPKT0_PS1_i.has_recursion, 0
	.set _ZL15unary_op_kernelIXadL_ZL6op_sinfEE6__halfEvPKT0_PS1_i.has_indirect_call, 0
	.section	.AMDGPU.csdata,"",@progbits
; Kernel info:
; codeLenInByte = 968
; TotalNumSgprs: 14
; NumVgprs: 16
; ScratchSize: 0
; MemoryBound: 0
; FloatMode: 240
; IeeeMode: 1
; LDSByteSize: 0 bytes/workgroup (compile time only)
; SGPRBlocks: 1
; VGPRBlocks: 3
; NumSGPRsForWavesPerEU: 14
; NumVGPRsForWavesPerEU: 16
; Occupancy: 10
; WaveLimiterHint : 0
; COMPUTE_PGM_RSRC2:SCRATCH_EN: 0
; COMPUTE_PGM_RSRC2:USER_SGPR: 6
; COMPUTE_PGM_RSRC2:TRAP_HANDLER: 0
; COMPUTE_PGM_RSRC2:TGID_X_EN: 1
; COMPUTE_PGM_RSRC2:TGID_Y_EN: 0
; COMPUTE_PGM_RSRC2:TGID_Z_EN: 0
; COMPUTE_PGM_RSRC2:TIDIG_COMP_CNT: 0
	.section	.text._ZL15unary_op_kernelIXadL_ZL6op_sinfEEfEvPKT0_PS0_i,"axG",@progbits,_ZL15unary_op_kernelIXadL_ZL6op_sinfEEfEvPKT0_PS0_i,comdat
	.globl	_ZL15unary_op_kernelIXadL_ZL6op_sinfEEfEvPKT0_PS0_i ; -- Begin function _ZL15unary_op_kernelIXadL_ZL6op_sinfEEfEvPKT0_PS0_i
	.p2align	8
	.type	_ZL15unary_op_kernelIXadL_ZL6op_sinfEEfEvPKT0_PS0_i,@function
_ZL15unary_op_kernelIXadL_ZL6op_sinfEEfEvPKT0_PS0_i: ; @_ZL15unary_op_kernelIXadL_ZL6op_sinfEEfEvPKT0_PS0_i
; %bb.0:
	s_load_dword s0, s[4:5], 0x24
	s_load_dword s1, s[4:5], 0x10
	s_waitcnt lgkmcnt(0)
	s_and_b32 s0, s0, 0xffff
	s_mul_i32 s6, s6, s0
	v_add_u32_e32 v0, s6, v0
	v_cmp_gt_i32_e32 vcc, s1, v0
	s_and_saveexec_b64 s[0:1], vcc
	s_cbranch_execz .LBB33_6
; %bb.1:
	s_load_dwordx4 s[4:7], s[4:5], 0x0
	v_ashrrev_i32_e32 v1, 31, v0
	v_lshlrev_b64 v[0:1], 2, v[0:1]
	s_brev_b32 s0, 18
                                        ; implicit-def: $vgpr4
                                        ; implicit-def: $vgpr5
	s_waitcnt lgkmcnt(0)
	v_mov_b32_e32 v3, s5
	v_add_co_u32_e32 v2, vcc, s4, v0
	v_addc_co_u32_e32 v3, vcc, v3, v1, vcc
	global_load_dword v2, v[2:3], off
	s_waitcnt vmcnt(0)
	v_and_b32_e32 v3, 0x7fffffff, v2
	v_cmp_nlt_f32_e64 s[0:1], |v2|, s0
	s_and_saveexec_b64 s[2:3], s[0:1]
	s_xor_b64 s[8:9], exec, s[2:3]
	s_cbranch_execz .LBB33_3
; %bb.2:
	v_and_b32_e32 v4, 0x7fffff, v3
	v_or_b32_e32 v13, 0x800000, v4
	s_mov_b32 s0, 0xfe5163ab
	v_mad_u64_u32 v[4:5], s[0:1], v13, s0, 0
	v_mov_b32_e32 v6, 0
	s_mov_b32 s0, 0x3c439041
	v_mad_u64_u32 v[7:8], s[0:1], v13, s0, v[5:6]
	s_mov_b32 s0, 0xdb629599
	v_not_b32_e32 v12, 63
	v_mov_b32_e32 v5, v8
	v_mad_u64_u32 v[8:9], s[0:1], v13, s0, v[5:6]
	s_mov_b32 s0, 0xf534ddc0
	v_not_b32_e32 v15, 31
	v_mov_b32_e32 v5, v9
	v_mad_u64_u32 v[9:10], s[0:1], v13, s0, v[5:6]
	v_lshrrev_b32_e32 v5, 23, v3
	v_add_u32_e32 v14, 0xffffff88, v5
	v_mov_b32_e32 v5, v10
	s_mov_b32 s0, 0xfc2757d1
	v_mad_u64_u32 v[10:11], s[0:1], v13, s0, v[5:6]
	v_cmp_lt_u32_e32 vcc, 63, v14
	v_cndmask_b32_e32 v5, 0, v12, vcc
	v_add_u32_e32 v14, v5, v14
	v_mov_b32_e32 v5, v11
	s_mov_b32 s0, 0x4e441529
	v_mad_u64_u32 v[11:12], s[0:1], v13, s0, v[5:6]
	v_cmp_lt_u32_e64 s[0:1], 31, v14
	v_cndmask_b32_e64 v5, 0, v15, s[0:1]
	v_add_u32_e32 v14, v5, v14
	v_mov_b32_e32 v5, v12
	s_mov_b32 s2, 0xa2f9836e
	v_mad_u64_u32 v[5:6], s[2:3], v13, s2, v[5:6]
	v_cmp_lt_u32_e64 s[2:3], 31, v14
	v_cndmask_b32_e64 v12, 0, v15, s[2:3]
	v_cndmask_b32_e32 v13, v11, v9, vcc
	v_cndmask_b32_e32 v5, v5, v10, vcc
	;; [unrolled: 1-line block ×3, first 2 shown]
	v_add_u32_e32 v12, v12, v14
	v_cndmask_b32_e64 v14, v5, v13, s[0:1]
	v_cndmask_b32_e64 v5, v6, v5, s[0:1]
	v_cndmask_b32_e32 v6, v10, v8, vcc
	v_cndmask_b32_e64 v10, v13, v6, s[0:1]
	v_cndmask_b32_e64 v5, v5, v14, s[2:3]
	;; [unrolled: 1-line block ×3, first 2 shown]
	v_sub_u32_e32 v13, 32, v12
	v_alignbit_b32 v14, v5, v11, v13
	v_cmp_eq_u32_e64 s[4:5], 0, v12
	v_cndmask_b32_e64 v12, v14, v5, s[4:5]
	v_cndmask_b32_e32 v5, v9, v7, vcc
	v_cndmask_b32_e64 v6, v6, v5, s[0:1]
	v_cndmask_b32_e64 v7, v10, v6, s[2:3]
	v_alignbit_b32 v9, v11, v7, v13
	v_cndmask_b32_e32 v4, v8, v4, vcc
	v_cndmask_b32_e64 v9, v9, v11, s[4:5]
	v_bfe_u32 v14, v12, 29, 1
	v_cndmask_b32_e64 v4, v5, v4, s[0:1]
	v_alignbit_b32 v10, v12, v9, 30
	v_sub_u32_e32 v15, 0, v14
	v_cndmask_b32_e64 v4, v6, v4, s[2:3]
	v_xor_b32_e32 v10, v10, v15
	v_alignbit_b32 v5, v7, v4, v13
	v_cndmask_b32_e64 v5, v5, v7, s[4:5]
	v_ffbh_u32_e32 v7, v10
	v_alignbit_b32 v6, v9, v5, 30
	v_min_u32_e32 v7, 32, v7
	v_alignbit_b32 v4, v5, v4, 30
	v_xor_b32_e32 v6, v6, v15
	v_sub_u32_e32 v8, 31, v7
	v_xor_b32_e32 v4, v4, v15
	v_alignbit_b32 v9, v10, v6, v8
	v_alignbit_b32 v4, v6, v4, v8
	;; [unrolled: 1-line block ×3, first 2 shown]
	v_ffbh_u32_e32 v6, v5
	v_min_u32_e32 v6, 32, v6
	v_lshrrev_b32_e32 v11, 29, v12
	v_not_b32_e32 v8, v6
	v_alignbit_b32 v4, v5, v4, v8
	v_lshlrev_b32_e32 v5, 31, v11
	v_or_b32_e32 v8, 0x33000000, v5
	v_add_lshl_u32 v6, v6, v7, 23
	v_lshrrev_b32_e32 v4, 9, v4
	v_sub_u32_e32 v6, v8, v6
	v_or_b32_e32 v5, 0.5, v5
	v_lshlrev_b32_e32 v7, 23, v7
	v_or_b32_e32 v4, v6, v4
	v_lshrrev_b32_e32 v6, 9, v9
	v_sub_u32_e32 v5, v5, v7
	v_or_b32_e32 v5, v6, v5
	s_mov_b32 s0, 0x3fc90fda
	v_mul_f32_e32 v6, 0x3fc90fda, v5
	v_fma_f32 v7, v5, s0, -v6
	v_fmac_f32_e32 v7, 0x33a22168, v5
	v_fmac_f32_e32 v7, 0x3fc90fda, v4
	v_lshrrev_b32_e32 v4, 30, v12
	v_add_f32_e32 v5, v6, v7
	v_add_u32_e32 v4, v14, v4
.LBB33_3:
	s_andn2_saveexec_b64 s[0:1], s[8:9]
	s_cbranch_execz .LBB33_5
; %bb.4:
	s_mov_b32 s2, 0x3f22f983
	v_mul_f32_e64 v4, |v2|, s2
	v_rndne_f32_e32 v6, v4
	s_mov_b32 s2, 0xbfc90fda
	v_cvt_i32_f32_e32 v4, v6
	v_fma_f32 v5, v6, s2, |v2|
	v_fmac_f32_e32 v5, 0xb3a22168, v6
	v_fmac_f32_e32 v5, 0xa7c234c4, v6
.LBB33_5:
	s_or_b64 exec, exec, s[0:1]
	v_mul_f32_e32 v6, v5, v5
	v_mov_b32_e32 v7, 0x3c0881c4
	v_fmac_f32_e32 v7, 0xb94c1982, v6
	v_mov_b32_e32 v8, 0xbe2aaa9d
	v_fmac_f32_e32 v8, v6, v7
	v_mul_f32_e32 v7, v6, v8
	v_fmac_f32_e32 v5, v5, v7
	v_mov_b32_e32 v7, 0xbab64f3b
	v_fmac_f32_e32 v7, 0x37d75334, v6
	v_mov_b32_e32 v8, 0x3d2aabf7
	;; [unrolled: 2-line block ×3, first 2 shown]
	v_fmac_f32_e32 v7, v6, v8
	v_fma_f32 v6, v6, v7, 1.0
	v_and_b32_e32 v7, 1, v4
	v_lshlrev_b32_e32 v4, 30, v4
	v_cmp_eq_u32_e32 vcc, 0, v7
	v_and_b32_e32 v4, 0x80000000, v4
	v_xor_b32_e32 v3, v3, v2
	v_cndmask_b32_e32 v5, v6, v5, vcc
	v_xor_b32_e32 v3, v3, v4
	s_movk_i32 s0, 0x1f8
	v_xor_b32_e32 v3, v3, v5
	v_mov_b32_e32 v4, 0x7fc00000
	v_cmp_class_f32_e64 vcc, v2, s0
	v_cndmask_b32_e32 v2, v4, v3, vcc
	v_mov_b32_e32 v3, s7
	v_add_co_u32_e32 v0, vcc, s6, v0
	v_addc_co_u32_e32 v1, vcc, v3, v1, vcc
	global_store_dword v[0:1], v2, off
.LBB33_6:
	s_endpgm
	.section	.rodata,"a",@progbits
	.p2align	6, 0x0
	.amdhsa_kernel _ZL15unary_op_kernelIXadL_ZL6op_sinfEEfEvPKT0_PS0_i
		.amdhsa_group_segment_fixed_size 0
		.amdhsa_private_segment_fixed_size 0
		.amdhsa_kernarg_size 280
		.amdhsa_user_sgpr_count 6
		.amdhsa_user_sgpr_private_segment_buffer 1
		.amdhsa_user_sgpr_dispatch_ptr 0
		.amdhsa_user_sgpr_queue_ptr 0
		.amdhsa_user_sgpr_kernarg_segment_ptr 1
		.amdhsa_user_sgpr_dispatch_id 0
		.amdhsa_user_sgpr_flat_scratch_init 0
		.amdhsa_user_sgpr_private_segment_size 0
		.amdhsa_uses_dynamic_stack 0
		.amdhsa_system_sgpr_private_segment_wavefront_offset 0
		.amdhsa_system_sgpr_workgroup_id_x 1
		.amdhsa_system_sgpr_workgroup_id_y 0
		.amdhsa_system_sgpr_workgroup_id_z 0
		.amdhsa_system_sgpr_workgroup_info 0
		.amdhsa_system_vgpr_workitem_id 0
		.amdhsa_next_free_vgpr 16
		.amdhsa_next_free_sgpr 10
		.amdhsa_reserve_vcc 1
		.amdhsa_reserve_flat_scratch 0
		.amdhsa_float_round_mode_32 0
		.amdhsa_float_round_mode_16_64 0
		.amdhsa_float_denorm_mode_32 3
		.amdhsa_float_denorm_mode_16_64 3
		.amdhsa_dx10_clamp 1
		.amdhsa_ieee_mode 1
		.amdhsa_fp16_overflow 0
		.amdhsa_exception_fp_ieee_invalid_op 0
		.amdhsa_exception_fp_denorm_src 0
		.amdhsa_exception_fp_ieee_div_zero 0
		.amdhsa_exception_fp_ieee_overflow 0
		.amdhsa_exception_fp_ieee_underflow 0
		.amdhsa_exception_fp_ieee_inexact 0
		.amdhsa_exception_int_div_zero 0
	.end_amdhsa_kernel
	.section	.text._ZL15unary_op_kernelIXadL_ZL6op_sinfEEfEvPKT0_PS0_i,"axG",@progbits,_ZL15unary_op_kernelIXadL_ZL6op_sinfEEfEvPKT0_PS0_i,comdat
.Lfunc_end33:
	.size	_ZL15unary_op_kernelIXadL_ZL6op_sinfEEfEvPKT0_PS0_i, .Lfunc_end33-_ZL15unary_op_kernelIXadL_ZL6op_sinfEEfEvPKT0_PS0_i
                                        ; -- End function
	.set _ZL15unary_op_kernelIXadL_ZL6op_sinfEEfEvPKT0_PS0_i.num_vgpr, 16
	.set _ZL15unary_op_kernelIXadL_ZL6op_sinfEEfEvPKT0_PS0_i.num_agpr, 0
	.set _ZL15unary_op_kernelIXadL_ZL6op_sinfEEfEvPKT0_PS0_i.numbered_sgpr, 10
	.set _ZL15unary_op_kernelIXadL_ZL6op_sinfEEfEvPKT0_PS0_i.num_named_barrier, 0
	.set _ZL15unary_op_kernelIXadL_ZL6op_sinfEEfEvPKT0_PS0_i.private_seg_size, 0
	.set _ZL15unary_op_kernelIXadL_ZL6op_sinfEEfEvPKT0_PS0_i.uses_vcc, 1
	.set _ZL15unary_op_kernelIXadL_ZL6op_sinfEEfEvPKT0_PS0_i.uses_flat_scratch, 0
	.set _ZL15unary_op_kernelIXadL_ZL6op_sinfEEfEvPKT0_PS0_i.has_dyn_sized_stack, 0
	.set _ZL15unary_op_kernelIXadL_ZL6op_sinfEEfEvPKT0_PS0_i.has_recursion, 0
	.set _ZL15unary_op_kernelIXadL_ZL6op_sinfEEfEvPKT0_PS0_i.has_indirect_call, 0
	.section	.AMDGPU.csdata,"",@progbits
; Kernel info:
; codeLenInByte = 960
; TotalNumSgprs: 14
; NumVgprs: 16
; ScratchSize: 0
; MemoryBound: 0
; FloatMode: 240
; IeeeMode: 1
; LDSByteSize: 0 bytes/workgroup (compile time only)
; SGPRBlocks: 1
; VGPRBlocks: 3
; NumSGPRsForWavesPerEU: 14
; NumVGPRsForWavesPerEU: 16
; Occupancy: 10
; WaveLimiterHint : 0
; COMPUTE_PGM_RSRC2:SCRATCH_EN: 0
; COMPUTE_PGM_RSRC2:USER_SGPR: 6
; COMPUTE_PGM_RSRC2:TRAP_HANDLER: 0
; COMPUTE_PGM_RSRC2:TGID_X_EN: 1
; COMPUTE_PGM_RSRC2:TGID_Y_EN: 0
; COMPUTE_PGM_RSRC2:TGID_Z_EN: 0
; COMPUTE_PGM_RSRC2:TIDIG_COMP_CNT: 0
	.section	.text._ZL15unary_op_kernelIXadL_ZL6op_cosfEE6__halfEvPKT0_PS1_i,"axG",@progbits,_ZL15unary_op_kernelIXadL_ZL6op_cosfEE6__halfEvPKT0_PS1_i,comdat
	.globl	_ZL15unary_op_kernelIXadL_ZL6op_cosfEE6__halfEvPKT0_PS1_i ; -- Begin function _ZL15unary_op_kernelIXadL_ZL6op_cosfEE6__halfEvPKT0_PS1_i
	.p2align	8
	.type	_ZL15unary_op_kernelIXadL_ZL6op_cosfEE6__halfEvPKT0_PS1_i,@function
_ZL15unary_op_kernelIXadL_ZL6op_cosfEE6__halfEvPKT0_PS1_i: ; @_ZL15unary_op_kernelIXadL_ZL6op_cosfEE6__halfEvPKT0_PS1_i
; %bb.0:
	s_load_dword s0, s[4:5], 0x24
	s_load_dword s1, s[4:5], 0x10
	s_waitcnt lgkmcnt(0)
	s_and_b32 s0, s0, 0xffff
	s_mul_i32 s6, s6, s0
	v_add_u32_e32 v0, s6, v0
	v_cmp_gt_i32_e32 vcc, s1, v0
	s_and_saveexec_b64 s[0:1], vcc
	s_cbranch_execz .LBB34_6
; %bb.1:
	s_load_dwordx4 s[4:7], s[4:5], 0x0
	v_ashrrev_i32_e32 v1, 31, v0
	v_lshlrev_b64 v[0:1], 1, v[0:1]
	s_brev_b32 s0, 18
                                        ; implicit-def: $vgpr4
	s_waitcnt lgkmcnt(0)
	v_mov_b32_e32 v3, s5
	v_add_co_u32_e32 v2, vcc, s4, v0
	v_addc_co_u32_e32 v3, vcc, v3, v1, vcc
	global_load_ushort v2, v[2:3], off
	s_waitcnt vmcnt(0)
	v_cvt_f32_f16_e64 v3, |v2|
	v_cmp_ngt_f32_e32 vcc, s0, v3
	s_and_saveexec_b64 s[0:1], vcc
	s_xor_b64 s[8:9], exec, s[0:1]
	s_cbranch_execz .LBB34_3
; %bb.2:
	v_and_b32_e32 v4, 0x7fffff, v3
	v_or_b32_e32 v13, 0x800000, v4
	s_mov_b32 s0, 0xfe5163ab
	v_mad_u64_u32 v[4:5], s[0:1], v13, s0, 0
	v_mov_b32_e32 v6, 0
	s_mov_b32 s0, 0x3c439041
	v_mad_u64_u32 v[7:8], s[0:1], v13, s0, v[5:6]
	s_mov_b32 s0, 0xdb629599
	v_lshrrev_b32_e32 v3, 23, v3
	v_mov_b32_e32 v5, v8
	v_mad_u64_u32 v[8:9], s[0:1], v13, s0, v[5:6]
	s_mov_b32 s0, 0xf534ddc0
	v_add_u32_e32 v3, 0xffffff88, v3
	v_mov_b32_e32 v5, v9
	v_mad_u64_u32 v[9:10], s[0:1], v13, s0, v[5:6]
	s_mov_b32 s0, 0xfc2757d1
	v_not_b32_e32 v12, 63
	v_mov_b32_e32 v5, v10
	v_mad_u64_u32 v[10:11], s[0:1], v13, s0, v[5:6]
	v_cmp_lt_u32_e32 vcc, 63, v3
	v_cndmask_b32_e32 v5, 0, v12, vcc
	v_add_u32_e32 v3, v5, v3
	v_mov_b32_e32 v5, v11
	s_mov_b32 s0, 0x4e441529
	v_mad_u64_u32 v[11:12], s[0:1], v13, s0, v[5:6]
	v_not_b32_e32 v14, 31
	v_cmp_lt_u32_e64 s[0:1], 31, v3
	v_cndmask_b32_e64 v5, 0, v14, s[0:1]
	v_add_u32_e32 v3, v5, v3
	v_mov_b32_e32 v5, v12
	s_mov_b32 s2, 0xa2f9836e
	v_mad_u64_u32 v[5:6], s[2:3], v13, s2, v[5:6]
	v_cmp_lt_u32_e64 s[2:3], 31, v3
	v_cndmask_b32_e64 v12, 0, v14, s[2:3]
	v_add_u32_e32 v3, v12, v3
	v_cndmask_b32_e32 v12, v11, v9, vcc
	v_cndmask_b32_e32 v5, v5, v10, vcc
	v_cndmask_b32_e32 v6, v6, v11, vcc
	v_cndmask_b32_e64 v13, v5, v12, s[0:1]
	v_cndmask_b32_e64 v5, v6, v5, s[0:1]
	v_cndmask_b32_e32 v6, v10, v8, vcc
	v_cndmask_b32_e64 v10, v12, v6, s[0:1]
	v_sub_u32_e32 v12, 32, v3
	v_cmp_eq_u32_e64 s[4:5], 0, v3
	v_cndmask_b32_e32 v3, v9, v7, vcc
	v_cndmask_b32_e64 v5, v5, v13, s[2:3]
	v_cndmask_b32_e64 v11, v13, v10, s[2:3]
	;; [unrolled: 1-line block ×3, first 2 shown]
	v_alignbit_b32 v13, v5, v11, v12
	v_cndmask_b32_e64 v7, v10, v6, s[2:3]
	v_cndmask_b32_e64 v5, v13, v5, s[4:5]
	v_alignbit_b32 v9, v11, v7, v12
	v_cndmask_b32_e32 v4, v8, v4, vcc
	v_cndmask_b32_e64 v9, v9, v11, s[4:5]
	v_bfe_u32 v13, v5, 29, 1
	v_cndmask_b32_e64 v3, v3, v4, s[0:1]
	v_alignbit_b32 v10, v5, v9, 30
	v_sub_u32_e32 v14, 0, v13
	v_cndmask_b32_e64 v3, v6, v3, s[2:3]
	v_xor_b32_e32 v10, v10, v14
	v_alignbit_b32 v4, v7, v3, v12
	v_cndmask_b32_e64 v4, v4, v7, s[4:5]
	v_ffbh_u32_e32 v7, v10
	v_alignbit_b32 v6, v9, v4, 30
	v_min_u32_e32 v7, 32, v7
	v_alignbit_b32 v3, v4, v3, 30
	v_xor_b32_e32 v6, v6, v14
	v_sub_u32_e32 v8, 31, v7
	v_xor_b32_e32 v3, v3, v14
	v_alignbit_b32 v9, v10, v6, v8
	v_alignbit_b32 v3, v6, v3, v8
	v_alignbit_b32 v4, v9, v3, 9
	v_ffbh_u32_e32 v6, v4
	v_min_u32_e32 v6, 32, v6
	v_lshrrev_b32_e32 v11, 29, v5
	v_not_b32_e32 v8, v6
	v_alignbit_b32 v3, v4, v3, v8
	v_lshlrev_b32_e32 v4, 31, v11
	v_or_b32_e32 v8, 0x33000000, v4
	v_add_lshl_u32 v6, v6, v7, 23
	v_lshrrev_b32_e32 v3, 9, v3
	v_sub_u32_e32 v6, v8, v6
	v_or_b32_e32 v4, 0.5, v4
	v_lshlrev_b32_e32 v7, 23, v7
	v_or_b32_e32 v3, v6, v3
	v_lshrrev_b32_e32 v6, 9, v9
	v_sub_u32_e32 v4, v4, v7
	v_or_b32_e32 v4, v6, v4
	s_mov_b32 s0, 0x3fc90fda
	v_mul_f32_e32 v6, 0x3fc90fda, v4
	v_fma_f32 v7, v4, s0, -v6
	v_fmac_f32_e32 v7, 0x33a22168, v4
	v_fmac_f32_e32 v7, 0x3fc90fda, v3
	v_lshrrev_b32_e32 v4, 30, v5
	v_add_f32_e32 v3, v6, v7
	v_add_u32_e32 v4, v13, v4
.LBB34_3:
	s_andn2_saveexec_b64 s[0:1], s[8:9]
; %bb.4:
	v_mul_f32_e32 v4, 0x3f22f983, v3
	v_rndne_f32_e32 v5, v4
	v_cvt_i32_f32_e32 v4, v5
	v_fmac_f32_e32 v3, 0xbfc90fda, v5
	v_fmac_f32_e32 v3, 0xb3a22168, v5
	v_fmac_f32_e32 v3, 0xa7c234c4, v5
; %bb.5:
	s_or_b64 exec, exec, s[0:1]
	v_mul_f32_e32 v5, v3, v3
	v_mov_b32_e32 v6, 0x3c0881c4
	v_fmac_f32_e32 v6, 0xb94c1982, v5
	v_mov_b32_e32 v7, 0xbe2aaa9d
	v_fmac_f32_e32 v7, v5, v6
	v_mul_f32_e32 v6, v5, v7
	v_fmac_f32_e32 v3, v3, v6
	v_mov_b32_e32 v6, 0xbab64f3b
	v_fmac_f32_e32 v6, 0x37d75334, v5
	v_mov_b32_e32 v7, 0x3d2aabf7
	;; [unrolled: 2-line block ×3, first 2 shown]
	v_fmac_f32_e32 v6, v5, v7
	v_fma_f32 v5, v5, v6, 1.0
	v_and_b32_e32 v6, 1, v4
	v_cmp_eq_u32_e32 vcc, 0, v6
	v_lshlrev_b32_e32 v4, 30, v4
	v_cndmask_b32_e64 v3, -v3, v5, vcc
	v_and_b32_e32 v4, 0x80000000, v4
	v_xor_b32_e32 v3, v4, v3
	v_cvt_f16_f32_e32 v3, v3
	s_movk_i32 s0, 0x1f8
	v_mov_b32_e32 v4, 0x7e00
	v_cmp_class_f16_e64 vcc, v2, s0
	v_cndmask_b32_e32 v2, v4, v3, vcc
	v_mov_b32_e32 v3, s7
	v_add_co_u32_e32 v0, vcc, s6, v0
	v_addc_co_u32_e32 v1, vcc, v3, v1, vcc
	global_store_short v[0:1], v2, off
.LBB34_6:
	s_endpgm
	.section	.rodata,"a",@progbits
	.p2align	6, 0x0
	.amdhsa_kernel _ZL15unary_op_kernelIXadL_ZL6op_cosfEE6__halfEvPKT0_PS1_i
		.amdhsa_group_segment_fixed_size 0
		.amdhsa_private_segment_fixed_size 0
		.amdhsa_kernarg_size 280
		.amdhsa_user_sgpr_count 6
		.amdhsa_user_sgpr_private_segment_buffer 1
		.amdhsa_user_sgpr_dispatch_ptr 0
		.amdhsa_user_sgpr_queue_ptr 0
		.amdhsa_user_sgpr_kernarg_segment_ptr 1
		.amdhsa_user_sgpr_dispatch_id 0
		.amdhsa_user_sgpr_flat_scratch_init 0
		.amdhsa_user_sgpr_private_segment_size 0
		.amdhsa_uses_dynamic_stack 0
		.amdhsa_system_sgpr_private_segment_wavefront_offset 0
		.amdhsa_system_sgpr_workgroup_id_x 1
		.amdhsa_system_sgpr_workgroup_id_y 0
		.amdhsa_system_sgpr_workgroup_id_z 0
		.amdhsa_system_sgpr_workgroup_info 0
		.amdhsa_system_vgpr_workitem_id 0
		.amdhsa_next_free_vgpr 15
		.amdhsa_next_free_sgpr 10
		.amdhsa_reserve_vcc 1
		.amdhsa_reserve_flat_scratch 0
		.amdhsa_float_round_mode_32 0
		.amdhsa_float_round_mode_16_64 0
		.amdhsa_float_denorm_mode_32 3
		.amdhsa_float_denorm_mode_16_64 3
		.amdhsa_dx10_clamp 1
		.amdhsa_ieee_mode 1
		.amdhsa_fp16_overflow 0
		.amdhsa_exception_fp_ieee_invalid_op 0
		.amdhsa_exception_fp_denorm_src 0
		.amdhsa_exception_fp_ieee_div_zero 0
		.amdhsa_exception_fp_ieee_overflow 0
		.amdhsa_exception_fp_ieee_underflow 0
		.amdhsa_exception_fp_ieee_inexact 0
		.amdhsa_exception_int_div_zero 0
	.end_amdhsa_kernel
	.section	.text._ZL15unary_op_kernelIXadL_ZL6op_cosfEE6__halfEvPKT0_PS1_i,"axG",@progbits,_ZL15unary_op_kernelIXadL_ZL6op_cosfEE6__halfEvPKT0_PS1_i,comdat
.Lfunc_end34:
	.size	_ZL15unary_op_kernelIXadL_ZL6op_cosfEE6__halfEvPKT0_PS1_i, .Lfunc_end34-_ZL15unary_op_kernelIXadL_ZL6op_cosfEE6__halfEvPKT0_PS1_i
                                        ; -- End function
	.set _ZL15unary_op_kernelIXadL_ZL6op_cosfEE6__halfEvPKT0_PS1_i.num_vgpr, 15
	.set _ZL15unary_op_kernelIXadL_ZL6op_cosfEE6__halfEvPKT0_PS1_i.num_agpr, 0
	.set _ZL15unary_op_kernelIXadL_ZL6op_cosfEE6__halfEvPKT0_PS1_i.numbered_sgpr, 10
	.set _ZL15unary_op_kernelIXadL_ZL6op_cosfEE6__halfEvPKT0_PS1_i.num_named_barrier, 0
	.set _ZL15unary_op_kernelIXadL_ZL6op_cosfEE6__halfEvPKT0_PS1_i.private_seg_size, 0
	.set _ZL15unary_op_kernelIXadL_ZL6op_cosfEE6__halfEvPKT0_PS1_i.uses_vcc, 1
	.set _ZL15unary_op_kernelIXadL_ZL6op_cosfEE6__halfEvPKT0_PS1_i.uses_flat_scratch, 0
	.set _ZL15unary_op_kernelIXadL_ZL6op_cosfEE6__halfEvPKT0_PS1_i.has_dyn_sized_stack, 0
	.set _ZL15unary_op_kernelIXadL_ZL6op_cosfEE6__halfEvPKT0_PS1_i.has_recursion, 0
	.set _ZL15unary_op_kernelIXadL_ZL6op_cosfEE6__halfEvPKT0_PS1_i.has_indirect_call, 0
	.section	.AMDGPU.csdata,"",@progbits
; Kernel info:
; codeLenInByte = 936
; TotalNumSgprs: 14
; NumVgprs: 15
; ScratchSize: 0
; MemoryBound: 0
; FloatMode: 240
; IeeeMode: 1
; LDSByteSize: 0 bytes/workgroup (compile time only)
; SGPRBlocks: 1
; VGPRBlocks: 3
; NumSGPRsForWavesPerEU: 14
; NumVGPRsForWavesPerEU: 15
; Occupancy: 10
; WaveLimiterHint : 0
; COMPUTE_PGM_RSRC2:SCRATCH_EN: 0
; COMPUTE_PGM_RSRC2:USER_SGPR: 6
; COMPUTE_PGM_RSRC2:TRAP_HANDLER: 0
; COMPUTE_PGM_RSRC2:TGID_X_EN: 1
; COMPUTE_PGM_RSRC2:TGID_Y_EN: 0
; COMPUTE_PGM_RSRC2:TGID_Z_EN: 0
; COMPUTE_PGM_RSRC2:TIDIG_COMP_CNT: 0
	.section	.text._ZL15unary_op_kernelIXadL_ZL6op_cosfEEfEvPKT0_PS0_i,"axG",@progbits,_ZL15unary_op_kernelIXadL_ZL6op_cosfEEfEvPKT0_PS0_i,comdat
	.globl	_ZL15unary_op_kernelIXadL_ZL6op_cosfEEfEvPKT0_PS0_i ; -- Begin function _ZL15unary_op_kernelIXadL_ZL6op_cosfEEfEvPKT0_PS0_i
	.p2align	8
	.type	_ZL15unary_op_kernelIXadL_ZL6op_cosfEEfEvPKT0_PS0_i,@function
_ZL15unary_op_kernelIXadL_ZL6op_cosfEEfEvPKT0_PS0_i: ; @_ZL15unary_op_kernelIXadL_ZL6op_cosfEEfEvPKT0_PS0_i
; %bb.0:
	s_load_dword s0, s[4:5], 0x24
	s_load_dword s1, s[4:5], 0x10
	s_waitcnt lgkmcnt(0)
	s_and_b32 s0, s0, 0xffff
	s_mul_i32 s6, s6, s0
	v_add_u32_e32 v0, s6, v0
	v_cmp_gt_i32_e32 vcc, s1, v0
	s_and_saveexec_b64 s[0:1], vcc
	s_cbranch_execz .LBB35_6
; %bb.1:
	s_load_dwordx4 s[4:7], s[4:5], 0x0
	v_ashrrev_i32_e32 v1, 31, v0
	v_lshlrev_b64 v[0:1], 2, v[0:1]
	s_brev_b32 s0, 18
                                        ; implicit-def: $vgpr4
	s_waitcnt lgkmcnt(0)
	v_mov_b32_e32 v3, s5
	v_add_co_u32_e32 v2, vcc, s4, v0
	v_addc_co_u32_e32 v3, vcc, v3, v1, vcc
	global_load_dword v2, v[2:3], off
                                        ; implicit-def: $vgpr3
	s_waitcnt vmcnt(0)
	v_cmp_nlt_f32_e64 s[0:1], |v2|, s0
	s_and_saveexec_b64 s[2:3], s[0:1]
	s_xor_b64 s[8:9], exec, s[2:3]
	s_cbranch_execz .LBB35_3
; %bb.2:
	v_and_b32_e32 v10, 0x7fffffff, v2
	v_and_b32_e32 v3, 0x7fffff, v10
	v_or_b32_e32 v12, 0x800000, v3
	s_mov_b32 s0, 0xfe5163ab
	v_mad_u64_u32 v[3:4], s[0:1], v12, s0, 0
	v_mov_b32_e32 v5, 0
	s_mov_b32 s0, 0x3c439041
	v_mad_u64_u32 v[6:7], s[0:1], v12, s0, v[4:5]
	s_mov_b32 s0, 0xdb629599
	v_not_b32_e32 v11, 63
	v_mov_b32_e32 v4, v7
	v_mad_u64_u32 v[7:8], s[0:1], v12, s0, v[4:5]
	s_mov_b32 s0, 0xf534ddc0
	v_not_b32_e32 v14, 31
	v_mov_b32_e32 v4, v8
	v_mad_u64_u32 v[8:9], s[0:1], v12, s0, v[4:5]
	v_lshrrev_b32_e32 v4, 23, v10
	v_add_u32_e32 v13, 0xffffff88, v4
	v_mov_b32_e32 v4, v9
	s_mov_b32 s0, 0xfc2757d1
	v_mad_u64_u32 v[9:10], s[0:1], v12, s0, v[4:5]
	v_cmp_lt_u32_e32 vcc, 63, v13
	v_cndmask_b32_e32 v4, 0, v11, vcc
	v_add_u32_e32 v13, v4, v13
	v_mov_b32_e32 v4, v10
	s_mov_b32 s0, 0x4e441529
	v_mad_u64_u32 v[10:11], s[0:1], v12, s0, v[4:5]
	v_cmp_lt_u32_e64 s[0:1], 31, v13
	v_cndmask_b32_e64 v4, 0, v14, s[0:1]
	v_add_u32_e32 v13, v4, v13
	v_mov_b32_e32 v4, v11
	s_mov_b32 s2, 0xa2f9836e
	v_mad_u64_u32 v[4:5], s[2:3], v12, s2, v[4:5]
	v_cmp_lt_u32_e64 s[2:3], 31, v13
	v_cndmask_b32_e64 v11, 0, v14, s[2:3]
	v_cndmask_b32_e32 v12, v10, v8, vcc
	v_cndmask_b32_e32 v4, v4, v9, vcc
	;; [unrolled: 1-line block ×3, first 2 shown]
	v_add_u32_e32 v11, v11, v13
	v_cndmask_b32_e64 v13, v4, v12, s[0:1]
	v_cndmask_b32_e64 v4, v5, v4, s[0:1]
	v_cndmask_b32_e32 v5, v9, v7, vcc
	v_cndmask_b32_e64 v9, v12, v5, s[0:1]
	v_cndmask_b32_e64 v4, v4, v13, s[2:3]
	;; [unrolled: 1-line block ×3, first 2 shown]
	v_sub_u32_e32 v12, 32, v11
	v_alignbit_b32 v13, v4, v10, v12
	v_cmp_eq_u32_e64 s[4:5], 0, v11
	v_cndmask_b32_e64 v11, v13, v4, s[4:5]
	v_cndmask_b32_e32 v4, v8, v6, vcc
	v_cndmask_b32_e64 v5, v5, v4, s[0:1]
	v_cndmask_b32_e64 v6, v9, v5, s[2:3]
	v_alignbit_b32 v8, v10, v6, v12
	v_cndmask_b32_e32 v3, v7, v3, vcc
	v_cndmask_b32_e64 v8, v8, v10, s[4:5]
	v_bfe_u32 v13, v11, 29, 1
	v_cndmask_b32_e64 v3, v4, v3, s[0:1]
	v_alignbit_b32 v9, v11, v8, 30
	v_sub_u32_e32 v14, 0, v13
	v_cndmask_b32_e64 v3, v5, v3, s[2:3]
	v_xor_b32_e32 v9, v9, v14
	v_alignbit_b32 v4, v6, v3, v12
	v_cndmask_b32_e64 v4, v4, v6, s[4:5]
	v_ffbh_u32_e32 v6, v9
	v_alignbit_b32 v5, v8, v4, 30
	v_min_u32_e32 v6, 32, v6
	v_alignbit_b32 v3, v4, v3, 30
	v_xor_b32_e32 v5, v5, v14
	v_sub_u32_e32 v7, 31, v6
	v_xor_b32_e32 v3, v3, v14
	v_alignbit_b32 v8, v9, v5, v7
	v_alignbit_b32 v3, v5, v3, v7
	;; [unrolled: 1-line block ×3, first 2 shown]
	v_ffbh_u32_e32 v5, v4
	v_min_u32_e32 v5, 32, v5
	v_lshrrev_b32_e32 v10, 29, v11
	v_not_b32_e32 v7, v5
	v_alignbit_b32 v3, v4, v3, v7
	v_lshlrev_b32_e32 v4, 31, v10
	v_or_b32_e32 v7, 0x33000000, v4
	v_add_lshl_u32 v5, v5, v6, 23
	v_lshrrev_b32_e32 v3, 9, v3
	v_sub_u32_e32 v5, v7, v5
	v_or_b32_e32 v4, 0.5, v4
	v_lshlrev_b32_e32 v6, 23, v6
	v_or_b32_e32 v3, v5, v3
	v_lshrrev_b32_e32 v5, 9, v8
	v_sub_u32_e32 v4, v4, v6
	v_or_b32_e32 v4, v5, v4
	s_mov_b32 s0, 0x3fc90fda
	v_mul_f32_e32 v5, 0x3fc90fda, v4
	v_fma_f32 v6, v4, s0, -v5
	v_fmac_f32_e32 v6, 0x33a22168, v4
	v_fmac_f32_e32 v6, 0x3fc90fda, v3
	v_lshrrev_b32_e32 v3, 30, v11
	v_add_f32_e32 v4, v5, v6
	v_add_u32_e32 v3, v13, v3
.LBB35_3:
	s_andn2_saveexec_b64 s[0:1], s[8:9]
	s_cbranch_execz .LBB35_5
; %bb.4:
	s_mov_b32 s2, 0x3f22f983
	v_mul_f32_e64 v3, |v2|, s2
	v_rndne_f32_e32 v5, v3
	s_mov_b32 s2, 0xbfc90fda
	v_cvt_i32_f32_e32 v3, v5
	v_fma_f32 v4, v5, s2, |v2|
	v_fmac_f32_e32 v4, 0xb3a22168, v5
	v_fmac_f32_e32 v4, 0xa7c234c4, v5
.LBB35_5:
	s_or_b64 exec, exec, s[0:1]
	v_mul_f32_e32 v5, v4, v4
	v_mov_b32_e32 v6, 0x3c0881c4
	v_fmac_f32_e32 v6, 0xb94c1982, v5
	v_mov_b32_e32 v7, 0xbe2aaa9d
	v_fmac_f32_e32 v7, v5, v6
	v_mul_f32_e32 v6, v5, v7
	v_fmac_f32_e32 v4, v4, v6
	v_mov_b32_e32 v6, 0xbab64f3b
	v_fmac_f32_e32 v6, 0x37d75334, v5
	v_mov_b32_e32 v7, 0x3d2aabf7
	;; [unrolled: 2-line block ×3, first 2 shown]
	v_fmac_f32_e32 v6, v5, v7
	v_fma_f32 v5, v5, v6, 1.0
	v_and_b32_e32 v6, 1, v3
	v_cmp_eq_u32_e32 vcc, 0, v6
	v_lshlrev_b32_e32 v3, 30, v3
	v_cndmask_b32_e64 v4, -v4, v5, vcc
	v_and_b32_e32 v3, 0x80000000, v3
	s_movk_i32 s0, 0x1f8
	v_xor_b32_e32 v3, v3, v4
	v_mov_b32_e32 v4, 0x7fc00000
	v_cmp_class_f32_e64 vcc, v2, s0
	v_cndmask_b32_e32 v2, v4, v3, vcc
	v_mov_b32_e32 v3, s7
	v_add_co_u32_e32 v0, vcc, s6, v0
	v_addc_co_u32_e32 v1, vcc, v3, v1, vcc
	global_store_dword v[0:1], v2, off
.LBB35_6:
	s_endpgm
	.section	.rodata,"a",@progbits
	.p2align	6, 0x0
	.amdhsa_kernel _ZL15unary_op_kernelIXadL_ZL6op_cosfEEfEvPKT0_PS0_i
		.amdhsa_group_segment_fixed_size 0
		.amdhsa_private_segment_fixed_size 0
		.amdhsa_kernarg_size 280
		.amdhsa_user_sgpr_count 6
		.amdhsa_user_sgpr_private_segment_buffer 1
		.amdhsa_user_sgpr_dispatch_ptr 0
		.amdhsa_user_sgpr_queue_ptr 0
		.amdhsa_user_sgpr_kernarg_segment_ptr 1
		.amdhsa_user_sgpr_dispatch_id 0
		.amdhsa_user_sgpr_flat_scratch_init 0
		.amdhsa_user_sgpr_private_segment_size 0
		.amdhsa_uses_dynamic_stack 0
		.amdhsa_system_sgpr_private_segment_wavefront_offset 0
		.amdhsa_system_sgpr_workgroup_id_x 1
		.amdhsa_system_sgpr_workgroup_id_y 0
		.amdhsa_system_sgpr_workgroup_id_z 0
		.amdhsa_system_sgpr_workgroup_info 0
		.amdhsa_system_vgpr_workitem_id 0
		.amdhsa_next_free_vgpr 15
		.amdhsa_next_free_sgpr 10
		.amdhsa_reserve_vcc 1
		.amdhsa_reserve_flat_scratch 0
		.amdhsa_float_round_mode_32 0
		.amdhsa_float_round_mode_16_64 0
		.amdhsa_float_denorm_mode_32 3
		.amdhsa_float_denorm_mode_16_64 3
		.amdhsa_dx10_clamp 1
		.amdhsa_ieee_mode 1
		.amdhsa_fp16_overflow 0
		.amdhsa_exception_fp_ieee_invalid_op 0
		.amdhsa_exception_fp_denorm_src 0
		.amdhsa_exception_fp_ieee_div_zero 0
		.amdhsa_exception_fp_ieee_overflow 0
		.amdhsa_exception_fp_ieee_underflow 0
		.amdhsa_exception_fp_ieee_inexact 0
		.amdhsa_exception_int_div_zero 0
	.end_amdhsa_kernel
	.section	.text._ZL15unary_op_kernelIXadL_ZL6op_cosfEEfEvPKT0_PS0_i,"axG",@progbits,_ZL15unary_op_kernelIXadL_ZL6op_cosfEEfEvPKT0_PS0_i,comdat
.Lfunc_end35:
	.size	_ZL15unary_op_kernelIXadL_ZL6op_cosfEEfEvPKT0_PS0_i, .Lfunc_end35-_ZL15unary_op_kernelIXadL_ZL6op_cosfEEfEvPKT0_PS0_i
                                        ; -- End function
	.set _ZL15unary_op_kernelIXadL_ZL6op_cosfEEfEvPKT0_PS0_i.num_vgpr, 15
	.set _ZL15unary_op_kernelIXadL_ZL6op_cosfEEfEvPKT0_PS0_i.num_agpr, 0
	.set _ZL15unary_op_kernelIXadL_ZL6op_cosfEEfEvPKT0_PS0_i.numbered_sgpr, 10
	.set _ZL15unary_op_kernelIXadL_ZL6op_cosfEEfEvPKT0_PS0_i.num_named_barrier, 0
	.set _ZL15unary_op_kernelIXadL_ZL6op_cosfEEfEvPKT0_PS0_i.private_seg_size, 0
	.set _ZL15unary_op_kernelIXadL_ZL6op_cosfEEfEvPKT0_PS0_i.uses_vcc, 1
	.set _ZL15unary_op_kernelIXadL_ZL6op_cosfEEfEvPKT0_PS0_i.uses_flat_scratch, 0
	.set _ZL15unary_op_kernelIXadL_ZL6op_cosfEEfEvPKT0_PS0_i.has_dyn_sized_stack, 0
	.set _ZL15unary_op_kernelIXadL_ZL6op_cosfEEfEvPKT0_PS0_i.has_recursion, 0
	.set _ZL15unary_op_kernelIXadL_ZL6op_cosfEEfEvPKT0_PS0_i.has_indirect_call, 0
	.section	.AMDGPU.csdata,"",@progbits
; Kernel info:
; codeLenInByte = 956
; TotalNumSgprs: 14
; NumVgprs: 15
; ScratchSize: 0
; MemoryBound: 0
; FloatMode: 240
; IeeeMode: 1
; LDSByteSize: 0 bytes/workgroup (compile time only)
; SGPRBlocks: 1
; VGPRBlocks: 3
; NumSGPRsForWavesPerEU: 14
; NumVGPRsForWavesPerEU: 15
; Occupancy: 10
; WaveLimiterHint : 0
; COMPUTE_PGM_RSRC2:SCRATCH_EN: 0
; COMPUTE_PGM_RSRC2:USER_SGPR: 6
; COMPUTE_PGM_RSRC2:TRAP_HANDLER: 0
; COMPUTE_PGM_RSRC2:TGID_X_EN: 1
; COMPUTE_PGM_RSRC2:TGID_Y_EN: 0
; COMPUTE_PGM_RSRC2:TGID_Z_EN: 0
; COMPUTE_PGM_RSRC2:TIDIG_COMP_CNT: 0
	.section	.text._ZL15unary_op_kernelIXadL_ZL6op_logfEE6__halfEvPKT0_PS1_i,"axG",@progbits,_ZL15unary_op_kernelIXadL_ZL6op_logfEE6__halfEvPKT0_PS1_i,comdat
	.globl	_ZL15unary_op_kernelIXadL_ZL6op_logfEE6__halfEvPKT0_PS1_i ; -- Begin function _ZL15unary_op_kernelIXadL_ZL6op_logfEE6__halfEvPKT0_PS1_i
	.p2align	8
	.type	_ZL15unary_op_kernelIXadL_ZL6op_logfEE6__halfEvPKT0_PS1_i,@function
_ZL15unary_op_kernelIXadL_ZL6op_logfEE6__halfEvPKT0_PS1_i: ; @_ZL15unary_op_kernelIXadL_ZL6op_logfEE6__halfEvPKT0_PS1_i
; %bb.0:
	s_load_dword s0, s[4:5], 0x24
	s_load_dword s1, s[4:5], 0x10
	s_waitcnt lgkmcnt(0)
	s_and_b32 s0, s0, 0xffff
	s_mul_i32 s6, s6, s0
	v_add_u32_e32 v0, s6, v0
	v_cmp_gt_i32_e32 vcc, s1, v0
	s_and_saveexec_b64 s[0:1], vcc
	s_cbranch_execz .LBB36_2
; %bb.1:
	s_load_dwordx4 s[0:3], s[4:5], 0x0
	v_ashrrev_i32_e32 v1, 31, v0
	v_lshlrev_b64 v[0:1], 1, v[0:1]
	s_waitcnt lgkmcnt(0)
	v_mov_b32_e32 v3, s1
	v_add_co_u32_e32 v2, vcc, s0, v0
	v_addc_co_u32_e32 v3, vcc, v3, v1, vcc
	global_load_ushort v2, v[2:3], off
	s_mov_b32 s0, 0x3f317217
	s_mov_b32 s1, 0x7f800000
	v_mov_b32_e32 v3, s3
	s_waitcnt vmcnt(0)
	v_cvt_f32_f16_e32 v2, v2
	v_log_f32_e32 v2, v2
	v_mul_f32_e32 v4, 0x3f317217, v2
	v_fma_f32 v4, v2, s0, -v4
	v_fmac_f32_e32 v4, 0x3377d1cf, v2
	v_fmac_f32_e32 v4, 0x3f317217, v2
	v_cmp_lt_f32_e64 vcc, |v2|, s1
	v_cndmask_b32_e32 v2, v2, v4, vcc
	v_cvt_f16_f32_e32 v2, v2
	v_add_co_u32_e32 v0, vcc, s2, v0
	v_addc_co_u32_e32 v1, vcc, v3, v1, vcc
	global_store_short v[0:1], v2, off
.LBB36_2:
	s_endpgm
	.section	.rodata,"a",@progbits
	.p2align	6, 0x0
	.amdhsa_kernel _ZL15unary_op_kernelIXadL_ZL6op_logfEE6__halfEvPKT0_PS1_i
		.amdhsa_group_segment_fixed_size 0
		.amdhsa_private_segment_fixed_size 0
		.amdhsa_kernarg_size 280
		.amdhsa_user_sgpr_count 6
		.amdhsa_user_sgpr_private_segment_buffer 1
		.amdhsa_user_sgpr_dispatch_ptr 0
		.amdhsa_user_sgpr_queue_ptr 0
		.amdhsa_user_sgpr_kernarg_segment_ptr 1
		.amdhsa_user_sgpr_dispatch_id 0
		.amdhsa_user_sgpr_flat_scratch_init 0
		.amdhsa_user_sgpr_private_segment_size 0
		.amdhsa_uses_dynamic_stack 0
		.amdhsa_system_sgpr_private_segment_wavefront_offset 0
		.amdhsa_system_sgpr_workgroup_id_x 1
		.amdhsa_system_sgpr_workgroup_id_y 0
		.amdhsa_system_sgpr_workgroup_id_z 0
		.amdhsa_system_sgpr_workgroup_info 0
		.amdhsa_system_vgpr_workitem_id 0
		.amdhsa_next_free_vgpr 5
		.amdhsa_next_free_sgpr 7
		.amdhsa_reserve_vcc 1
		.amdhsa_reserve_flat_scratch 0
		.amdhsa_float_round_mode_32 0
		.amdhsa_float_round_mode_16_64 0
		.amdhsa_float_denorm_mode_32 3
		.amdhsa_float_denorm_mode_16_64 3
		.amdhsa_dx10_clamp 1
		.amdhsa_ieee_mode 1
		.amdhsa_fp16_overflow 0
		.amdhsa_exception_fp_ieee_invalid_op 0
		.amdhsa_exception_fp_denorm_src 0
		.amdhsa_exception_fp_ieee_div_zero 0
		.amdhsa_exception_fp_ieee_overflow 0
		.amdhsa_exception_fp_ieee_underflow 0
		.amdhsa_exception_fp_ieee_inexact 0
		.amdhsa_exception_int_div_zero 0
	.end_amdhsa_kernel
	.section	.text._ZL15unary_op_kernelIXadL_ZL6op_logfEE6__halfEvPKT0_PS1_i,"axG",@progbits,_ZL15unary_op_kernelIXadL_ZL6op_logfEE6__halfEvPKT0_PS1_i,comdat
.Lfunc_end36:
	.size	_ZL15unary_op_kernelIXadL_ZL6op_logfEE6__halfEvPKT0_PS1_i, .Lfunc_end36-_ZL15unary_op_kernelIXadL_ZL6op_logfEE6__halfEvPKT0_PS1_i
                                        ; -- End function
	.set _ZL15unary_op_kernelIXadL_ZL6op_logfEE6__halfEvPKT0_PS1_i.num_vgpr, 5
	.set _ZL15unary_op_kernelIXadL_ZL6op_logfEE6__halfEvPKT0_PS1_i.num_agpr, 0
	.set _ZL15unary_op_kernelIXadL_ZL6op_logfEE6__halfEvPKT0_PS1_i.numbered_sgpr, 7
	.set _ZL15unary_op_kernelIXadL_ZL6op_logfEE6__halfEvPKT0_PS1_i.num_named_barrier, 0
	.set _ZL15unary_op_kernelIXadL_ZL6op_logfEE6__halfEvPKT0_PS1_i.private_seg_size, 0
	.set _ZL15unary_op_kernelIXadL_ZL6op_logfEE6__halfEvPKT0_PS1_i.uses_vcc, 1
	.set _ZL15unary_op_kernelIXadL_ZL6op_logfEE6__halfEvPKT0_PS1_i.uses_flat_scratch, 0
	.set _ZL15unary_op_kernelIXadL_ZL6op_logfEE6__halfEvPKT0_PS1_i.has_dyn_sized_stack, 0
	.set _ZL15unary_op_kernelIXadL_ZL6op_logfEE6__halfEvPKT0_PS1_i.has_recursion, 0
	.set _ZL15unary_op_kernelIXadL_ZL6op_logfEE6__halfEvPKT0_PS1_i.has_indirect_call, 0
	.section	.AMDGPU.csdata,"",@progbits
; Kernel info:
; codeLenInByte = 192
; TotalNumSgprs: 11
; NumVgprs: 5
; ScratchSize: 0
; MemoryBound: 0
; FloatMode: 240
; IeeeMode: 1
; LDSByteSize: 0 bytes/workgroup (compile time only)
; SGPRBlocks: 1
; VGPRBlocks: 1
; NumSGPRsForWavesPerEU: 11
; NumVGPRsForWavesPerEU: 5
; Occupancy: 10
; WaveLimiterHint : 0
; COMPUTE_PGM_RSRC2:SCRATCH_EN: 0
; COMPUTE_PGM_RSRC2:USER_SGPR: 6
; COMPUTE_PGM_RSRC2:TRAP_HANDLER: 0
; COMPUTE_PGM_RSRC2:TGID_X_EN: 1
; COMPUTE_PGM_RSRC2:TGID_Y_EN: 0
; COMPUTE_PGM_RSRC2:TGID_Z_EN: 0
; COMPUTE_PGM_RSRC2:TIDIG_COMP_CNT: 0
	.section	.text._ZL15unary_op_kernelIXadL_ZL6op_logfEEfEvPKT0_PS0_i,"axG",@progbits,_ZL15unary_op_kernelIXadL_ZL6op_logfEEfEvPKT0_PS0_i,comdat
	.globl	_ZL15unary_op_kernelIXadL_ZL6op_logfEEfEvPKT0_PS0_i ; -- Begin function _ZL15unary_op_kernelIXadL_ZL6op_logfEEfEvPKT0_PS0_i
	.p2align	8
	.type	_ZL15unary_op_kernelIXadL_ZL6op_logfEEfEvPKT0_PS0_i,@function
_ZL15unary_op_kernelIXadL_ZL6op_logfEEfEvPKT0_PS0_i: ; @_ZL15unary_op_kernelIXadL_ZL6op_logfEEfEvPKT0_PS0_i
; %bb.0:
	s_load_dword s0, s[4:5], 0x24
	s_load_dword s1, s[4:5], 0x10
	s_waitcnt lgkmcnt(0)
	s_and_b32 s0, s0, 0xffff
	s_mul_i32 s6, s6, s0
	v_add_u32_e32 v0, s6, v0
	v_cmp_gt_i32_e32 vcc, s1, v0
	s_and_saveexec_b64 s[0:1], vcc
	s_cbranch_execz .LBB37_2
; %bb.1:
	s_load_dwordx4 s[0:3], s[4:5], 0x0
	v_ashrrev_i32_e32 v1, 31, v0
	v_lshlrev_b64 v[0:1], 2, v[0:1]
	s_mov_b32 s4, 0x3f317217
	s_mov_b32 s5, 0x7f800000
	s_waitcnt lgkmcnt(0)
	v_mov_b32_e32 v3, s1
	v_add_co_u32_e32 v2, vcc, s0, v0
	v_addc_co_u32_e32 v3, vcc, v3, v1, vcc
	global_load_dword v2, v[2:3], off
	s_mov_b32 s0, 0x800000
	v_mov_b32_e32 v4, s3
	v_mov_b32_e32 v3, 0x41b17218
	s_waitcnt vmcnt(0)
	v_cmp_gt_f32_e32 vcc, s0, v2
	v_cndmask_b32_e64 v5, 0, 32, vcc
	v_ldexp_f32 v2, v2, v5
	v_log_f32_e32 v2, v2
	v_add_co_u32_e64 v0, s[0:1], s2, v0
	v_addc_co_u32_e64 v1, s[0:1], v4, v1, s[0:1]
	v_mul_f32_e32 v4, 0x3f317217, v2
	v_fma_f32 v4, v2, s4, -v4
	v_fmac_f32_e32 v4, 0x3377d1cf, v2
	v_fmac_f32_e32 v4, 0x3f317217, v2
	v_cmp_lt_f32_e64 s[0:1], |v2|, s5
	v_cndmask_b32_e64 v2, v2, v4, s[0:1]
	v_cndmask_b32_e32 v3, 0, v3, vcc
	v_sub_f32_e32 v2, v2, v3
	global_store_dword v[0:1], v2, off
.LBB37_2:
	s_endpgm
	.section	.rodata,"a",@progbits
	.p2align	6, 0x0
	.amdhsa_kernel _ZL15unary_op_kernelIXadL_ZL6op_logfEEfEvPKT0_PS0_i
		.amdhsa_group_segment_fixed_size 0
		.amdhsa_private_segment_fixed_size 0
		.amdhsa_kernarg_size 280
		.amdhsa_user_sgpr_count 6
		.amdhsa_user_sgpr_private_segment_buffer 1
		.amdhsa_user_sgpr_dispatch_ptr 0
		.amdhsa_user_sgpr_queue_ptr 0
		.amdhsa_user_sgpr_kernarg_segment_ptr 1
		.amdhsa_user_sgpr_dispatch_id 0
		.amdhsa_user_sgpr_flat_scratch_init 0
		.amdhsa_user_sgpr_private_segment_size 0
		.amdhsa_uses_dynamic_stack 0
		.amdhsa_system_sgpr_private_segment_wavefront_offset 0
		.amdhsa_system_sgpr_workgroup_id_x 1
		.amdhsa_system_sgpr_workgroup_id_y 0
		.amdhsa_system_sgpr_workgroup_id_z 0
		.amdhsa_system_sgpr_workgroup_info 0
		.amdhsa_system_vgpr_workitem_id 0
		.amdhsa_next_free_vgpr 6
		.amdhsa_next_free_sgpr 7
		.amdhsa_reserve_vcc 1
		.amdhsa_reserve_flat_scratch 0
		.amdhsa_float_round_mode_32 0
		.amdhsa_float_round_mode_16_64 0
		.amdhsa_float_denorm_mode_32 3
		.amdhsa_float_denorm_mode_16_64 3
		.amdhsa_dx10_clamp 1
		.amdhsa_ieee_mode 1
		.amdhsa_fp16_overflow 0
		.amdhsa_exception_fp_ieee_invalid_op 0
		.amdhsa_exception_fp_denorm_src 0
		.amdhsa_exception_fp_ieee_div_zero 0
		.amdhsa_exception_fp_ieee_overflow 0
		.amdhsa_exception_fp_ieee_underflow 0
		.amdhsa_exception_fp_ieee_inexact 0
		.amdhsa_exception_int_div_zero 0
	.end_amdhsa_kernel
	.section	.text._ZL15unary_op_kernelIXadL_ZL6op_logfEEfEvPKT0_PS0_i,"axG",@progbits,_ZL15unary_op_kernelIXadL_ZL6op_logfEEfEvPKT0_PS0_i,comdat
.Lfunc_end37:
	.size	_ZL15unary_op_kernelIXadL_ZL6op_logfEEfEvPKT0_PS0_i, .Lfunc_end37-_ZL15unary_op_kernelIXadL_ZL6op_logfEEfEvPKT0_PS0_i
                                        ; -- End function
	.set _ZL15unary_op_kernelIXadL_ZL6op_logfEEfEvPKT0_PS0_i.num_vgpr, 6
	.set _ZL15unary_op_kernelIXadL_ZL6op_logfEEfEvPKT0_PS0_i.num_agpr, 0
	.set _ZL15unary_op_kernelIXadL_ZL6op_logfEEfEvPKT0_PS0_i.numbered_sgpr, 7
	.set _ZL15unary_op_kernelIXadL_ZL6op_logfEEfEvPKT0_PS0_i.num_named_barrier, 0
	.set _ZL15unary_op_kernelIXadL_ZL6op_logfEEfEvPKT0_PS0_i.private_seg_size, 0
	.set _ZL15unary_op_kernelIXadL_ZL6op_logfEEfEvPKT0_PS0_i.uses_vcc, 1
	.set _ZL15unary_op_kernelIXadL_ZL6op_logfEEfEvPKT0_PS0_i.uses_flat_scratch, 0
	.set _ZL15unary_op_kernelIXadL_ZL6op_logfEEfEvPKT0_PS0_i.has_dyn_sized_stack, 0
	.set _ZL15unary_op_kernelIXadL_ZL6op_logfEEfEvPKT0_PS0_i.has_recursion, 0
	.set _ZL15unary_op_kernelIXadL_ZL6op_logfEEfEvPKT0_PS0_i.has_indirect_call, 0
	.section	.AMDGPU.csdata,"",@progbits
; Kernel info:
; codeLenInByte = 240
; TotalNumSgprs: 11
; NumVgprs: 6
; ScratchSize: 0
; MemoryBound: 0
; FloatMode: 240
; IeeeMode: 1
; LDSByteSize: 0 bytes/workgroup (compile time only)
; SGPRBlocks: 1
; VGPRBlocks: 1
; NumSGPRsForWavesPerEU: 11
; NumVGPRsForWavesPerEU: 6
; Occupancy: 10
; WaveLimiterHint : 0
; COMPUTE_PGM_RSRC2:SCRATCH_EN: 0
; COMPUTE_PGM_RSRC2:USER_SGPR: 6
; COMPUTE_PGM_RSRC2:TRAP_HANDLER: 0
; COMPUTE_PGM_RSRC2:TGID_X_EN: 1
; COMPUTE_PGM_RSRC2:TGID_Y_EN: 0
; COMPUTE_PGM_RSRC2:TGID_Z_EN: 0
; COMPUTE_PGM_RSRC2:TIDIG_COMP_CNT: 0
	.section	.text._ZL15unary_op_kernelIXadL_ZL6op_elufEE6__halfEvPKT0_PS1_i,"axG",@progbits,_ZL15unary_op_kernelIXadL_ZL6op_elufEE6__halfEvPKT0_PS1_i,comdat
	.globl	_ZL15unary_op_kernelIXadL_ZL6op_elufEE6__halfEvPKT0_PS1_i ; -- Begin function _ZL15unary_op_kernelIXadL_ZL6op_elufEE6__halfEvPKT0_PS1_i
	.p2align	8
	.type	_ZL15unary_op_kernelIXadL_ZL6op_elufEE6__halfEvPKT0_PS1_i,@function
_ZL15unary_op_kernelIXadL_ZL6op_elufEE6__halfEvPKT0_PS1_i: ; @_ZL15unary_op_kernelIXadL_ZL6op_elufEE6__halfEvPKT0_PS1_i
; %bb.0:
	s_load_dword s0, s[4:5], 0x24
	s_load_dword s1, s[4:5], 0x10
	s_waitcnt lgkmcnt(0)
	s_and_b32 s0, s0, 0xffff
	s_mul_i32 s6, s6, s0
	v_add_u32_e32 v0, s6, v0
	v_cmp_gt_i32_e32 vcc, s1, v0
	s_and_saveexec_b64 s[0:1], vcc
	s_cbranch_execz .LBB38_4
; %bb.1:
	s_load_dwordx4 s[0:3], s[4:5], 0x0
	v_ashrrev_i32_e32 v1, 31, v0
	v_lshlrev_b64 v[0:1], 1, v[0:1]
	s_waitcnt lgkmcnt(0)
	v_mov_b32_e32 v3, s1
	v_add_co_u32_e32 v2, vcc, s0, v0
	v_addc_co_u32_e32 v3, vcc, v3, v1, vcc
	global_load_ushort v2, v[2:3], off
	s_waitcnt vmcnt(0)
	v_cmp_nlt_f16_e32 vcc, 0, v2
	s_and_saveexec_b64 s[0:1], vcc
	s_cbranch_execz .LBB38_3
; %bb.2:
	v_cvt_f32_f16_e32 v3, v2
	s_mov_b32 s4, 0xbf317218
	v_mov_b32_e32 v4, 0x3ab69700
	v_mov_b32_e32 v5, 0x3c0887f9
	v_mul_f32_e32 v3, 0x3fb8aa3b, v3
	v_rndne_f32_e32 v3, v3
	v_fma_mix_f32 v6, v3, s4, v2 op_sel_hi:[0,0,1]
	v_fmac_f32_e32 v6, 0x3102e308, v3
	v_fmac_f32_e32 v4, 0x395133b1, v6
	;; [unrolled: 1-line block ×3, first 2 shown]
	v_mov_b32_e32 v4, 0x3d2aaa81
	v_fmac_f32_e32 v4, v6, v5
	v_mov_b32_e32 v5, 0x3e2aaaab
	v_fmac_f32_e32 v5, v6, v4
	v_fma_f32 v4, v6, v5, 0.5
	v_cvt_i32_f32_e32 v5, v3
	v_mul_f32_e32 v4, v6, v4
	s_mov_b32 s4, 0x43000000
	v_fmac_f32_e32 v6, v6, v4
	v_ldexp_f32 v4, 1.0, v5
	v_mov_b32_e32 v5, 0x7f000000
	v_cmp_eq_f32_e32 vcc, s4, v3
	v_cndmask_b32_e32 v3, v4, v5, vcc
	v_add_f32_e32 v4, -1.0, v3
	v_fmac_f32_e32 v4, v3, v6
	v_add_f32_e32 v3, v4, v4
	v_cndmask_b32_e32 v3, v4, v3, vcc
	v_cvt_f16_f32_e32 v3, v3
	s_mov_b32 s4, 0xcc40
	v_mov_b32_e32 v4, 0xbc00
	v_cmp_ngt_f16_e32 vcc, s4, v2
	v_cndmask_b32_e32 v2, v4, v3, vcc
.LBB38_3:
	s_or_b64 exec, exec, s[0:1]
	v_mov_b32_e32 v3, s3
	v_add_co_u32_e32 v0, vcc, s2, v0
	v_addc_co_u32_e32 v1, vcc, v3, v1, vcc
	global_store_short v[0:1], v2, off
.LBB38_4:
	s_endpgm
	.section	.rodata,"a",@progbits
	.p2align	6, 0x0
	.amdhsa_kernel _ZL15unary_op_kernelIXadL_ZL6op_elufEE6__halfEvPKT0_PS1_i
		.amdhsa_group_segment_fixed_size 0
		.amdhsa_private_segment_fixed_size 0
		.amdhsa_kernarg_size 280
		.amdhsa_user_sgpr_count 6
		.amdhsa_user_sgpr_private_segment_buffer 1
		.amdhsa_user_sgpr_dispatch_ptr 0
		.amdhsa_user_sgpr_queue_ptr 0
		.amdhsa_user_sgpr_kernarg_segment_ptr 1
		.amdhsa_user_sgpr_dispatch_id 0
		.amdhsa_user_sgpr_flat_scratch_init 0
		.amdhsa_user_sgpr_private_segment_size 0
		.amdhsa_uses_dynamic_stack 0
		.amdhsa_system_sgpr_private_segment_wavefront_offset 0
		.amdhsa_system_sgpr_workgroup_id_x 1
		.amdhsa_system_sgpr_workgroup_id_y 0
		.amdhsa_system_sgpr_workgroup_id_z 0
		.amdhsa_system_sgpr_workgroup_info 0
		.amdhsa_system_vgpr_workitem_id 0
		.amdhsa_next_free_vgpr 7
		.amdhsa_next_free_sgpr 7
		.amdhsa_reserve_vcc 1
		.amdhsa_reserve_flat_scratch 0
		.amdhsa_float_round_mode_32 0
		.amdhsa_float_round_mode_16_64 0
		.amdhsa_float_denorm_mode_32 3
		.amdhsa_float_denorm_mode_16_64 3
		.amdhsa_dx10_clamp 1
		.amdhsa_ieee_mode 1
		.amdhsa_fp16_overflow 0
		.amdhsa_exception_fp_ieee_invalid_op 0
		.amdhsa_exception_fp_denorm_src 0
		.amdhsa_exception_fp_ieee_div_zero 0
		.amdhsa_exception_fp_ieee_overflow 0
		.amdhsa_exception_fp_ieee_underflow 0
		.amdhsa_exception_fp_ieee_inexact 0
		.amdhsa_exception_int_div_zero 0
	.end_amdhsa_kernel
	.section	.text._ZL15unary_op_kernelIXadL_ZL6op_elufEE6__halfEvPKT0_PS1_i,"axG",@progbits,_ZL15unary_op_kernelIXadL_ZL6op_elufEE6__halfEvPKT0_PS1_i,comdat
.Lfunc_end38:
	.size	_ZL15unary_op_kernelIXadL_ZL6op_elufEE6__halfEvPKT0_PS1_i, .Lfunc_end38-_ZL15unary_op_kernelIXadL_ZL6op_elufEE6__halfEvPKT0_PS1_i
                                        ; -- End function
	.set _ZL15unary_op_kernelIXadL_ZL6op_elufEE6__halfEvPKT0_PS1_i.num_vgpr, 7
	.set _ZL15unary_op_kernelIXadL_ZL6op_elufEE6__halfEvPKT0_PS1_i.num_agpr, 0
	.set _ZL15unary_op_kernelIXadL_ZL6op_elufEE6__halfEvPKT0_PS1_i.numbered_sgpr, 7
	.set _ZL15unary_op_kernelIXadL_ZL6op_elufEE6__halfEvPKT0_PS1_i.num_named_barrier, 0
	.set _ZL15unary_op_kernelIXadL_ZL6op_elufEE6__halfEvPKT0_PS1_i.private_seg_size, 0
	.set _ZL15unary_op_kernelIXadL_ZL6op_elufEE6__halfEvPKT0_PS1_i.uses_vcc, 1
	.set _ZL15unary_op_kernelIXadL_ZL6op_elufEE6__halfEvPKT0_PS1_i.uses_flat_scratch, 0
	.set _ZL15unary_op_kernelIXadL_ZL6op_elufEE6__halfEvPKT0_PS1_i.has_dyn_sized_stack, 0
	.set _ZL15unary_op_kernelIXadL_ZL6op_elufEE6__halfEvPKT0_PS1_i.has_recursion, 0
	.set _ZL15unary_op_kernelIXadL_ZL6op_elufEE6__halfEvPKT0_PS1_i.has_indirect_call, 0
	.section	.AMDGPU.csdata,"",@progbits
; Kernel info:
; codeLenInByte = 324
; TotalNumSgprs: 11
; NumVgprs: 7
; ScratchSize: 0
; MemoryBound: 0
; FloatMode: 240
; IeeeMode: 1
; LDSByteSize: 0 bytes/workgroup (compile time only)
; SGPRBlocks: 1
; VGPRBlocks: 1
; NumSGPRsForWavesPerEU: 11
; NumVGPRsForWavesPerEU: 7
; Occupancy: 10
; WaveLimiterHint : 0
; COMPUTE_PGM_RSRC2:SCRATCH_EN: 0
; COMPUTE_PGM_RSRC2:USER_SGPR: 6
; COMPUTE_PGM_RSRC2:TRAP_HANDLER: 0
; COMPUTE_PGM_RSRC2:TGID_X_EN: 1
; COMPUTE_PGM_RSRC2:TGID_Y_EN: 0
; COMPUTE_PGM_RSRC2:TGID_Z_EN: 0
; COMPUTE_PGM_RSRC2:TIDIG_COMP_CNT: 0
	.section	.text._ZL15unary_op_kernelIXadL_ZL6op_elufEEfEvPKT0_PS0_i,"axG",@progbits,_ZL15unary_op_kernelIXadL_ZL6op_elufEEfEvPKT0_PS0_i,comdat
	.globl	_ZL15unary_op_kernelIXadL_ZL6op_elufEEfEvPKT0_PS0_i ; -- Begin function _ZL15unary_op_kernelIXadL_ZL6op_elufEEfEvPKT0_PS0_i
	.p2align	8
	.type	_ZL15unary_op_kernelIXadL_ZL6op_elufEEfEvPKT0_PS0_i,@function
_ZL15unary_op_kernelIXadL_ZL6op_elufEEfEvPKT0_PS0_i: ; @_ZL15unary_op_kernelIXadL_ZL6op_elufEEfEvPKT0_PS0_i
; %bb.0:
	s_load_dword s0, s[4:5], 0x24
	s_load_dword s1, s[4:5], 0x10
	s_waitcnt lgkmcnt(0)
	s_and_b32 s0, s0, 0xffff
	s_mul_i32 s6, s6, s0
	v_add_u32_e32 v0, s6, v0
	v_cmp_gt_i32_e32 vcc, s1, v0
	s_and_saveexec_b64 s[0:1], vcc
	s_cbranch_execz .LBB39_4
; %bb.1:
	s_load_dwordx4 s[0:3], s[4:5], 0x0
	v_ashrrev_i32_e32 v1, 31, v0
	v_lshlrev_b64 v[0:1], 2, v[0:1]
	s_waitcnt lgkmcnt(0)
	v_mov_b32_e32 v3, s1
	v_add_co_u32_e32 v2, vcc, s0, v0
	v_addc_co_u32_e32 v3, vcc, v3, v1, vcc
	global_load_dword v2, v[2:3], off
	s_waitcnt vmcnt(0)
	v_cmp_nlt_f32_e32 vcc, 0, v2
	s_and_saveexec_b64 s[0:1], vcc
	s_cbranch_execz .LBB39_3
; %bb.2:
	v_mul_f32_e32 v3, 0x3fb8aa3b, v2
	v_rndne_f32_e32 v3, v3
	v_mov_b32_e32 v4, v2
	v_fmac_f32_e32 v4, 0xbf317218, v3
	v_fmac_f32_e32 v4, 0x3102e308, v3
	v_mov_b32_e32 v5, 0x3ab69700
	v_fmac_f32_e32 v5, 0x395133b1, v4
	v_mov_b32_e32 v6, 0x3c0887f9
	;; [unrolled: 2-line block ×4, first 2 shown]
	v_fmac_f32_e32 v6, v4, v5
	v_fma_f32 v5, v4, v6, 0.5
	v_cvt_i32_f32_e32 v6, v3
	v_mul_f32_e32 v5, v4, v5
	s_mov_b32 s4, 0x43000000
	v_fmac_f32_e32 v4, v4, v5
	v_ldexp_f32 v5, 1.0, v6
	v_mov_b32_e32 v6, 0x7f000000
	v_cmp_eq_f32_e32 vcc, s4, v3
	v_cndmask_b32_e32 v3, v5, v6, vcc
	v_add_f32_e32 v5, -1.0, v3
	v_fmac_f32_e32 v5, v3, v4
	v_add_f32_e32 v3, v5, v5
	s_mov_b32 s4, 0xc1880000
	v_cndmask_b32_e32 v3, v5, v3, vcc
	v_cmp_ngt_f32_e32 vcc, s4, v2
	v_cndmask_b32_e32 v2, -1.0, v3, vcc
.LBB39_3:
	s_or_b64 exec, exec, s[0:1]
	v_mov_b32_e32 v3, s3
	v_add_co_u32_e32 v0, vcc, s2, v0
	v_addc_co_u32_e32 v1, vcc, v3, v1, vcc
	global_store_dword v[0:1], v2, off
.LBB39_4:
	s_endpgm
	.section	.rodata,"a",@progbits
	.p2align	6, 0x0
	.amdhsa_kernel _ZL15unary_op_kernelIXadL_ZL6op_elufEEfEvPKT0_PS0_i
		.amdhsa_group_segment_fixed_size 0
		.amdhsa_private_segment_fixed_size 0
		.amdhsa_kernarg_size 280
		.amdhsa_user_sgpr_count 6
		.amdhsa_user_sgpr_private_segment_buffer 1
		.amdhsa_user_sgpr_dispatch_ptr 0
		.amdhsa_user_sgpr_queue_ptr 0
		.amdhsa_user_sgpr_kernarg_segment_ptr 1
		.amdhsa_user_sgpr_dispatch_id 0
		.amdhsa_user_sgpr_flat_scratch_init 0
		.amdhsa_user_sgpr_private_segment_size 0
		.amdhsa_uses_dynamic_stack 0
		.amdhsa_system_sgpr_private_segment_wavefront_offset 0
		.amdhsa_system_sgpr_workgroup_id_x 1
		.amdhsa_system_sgpr_workgroup_id_y 0
		.amdhsa_system_sgpr_workgroup_id_z 0
		.amdhsa_system_sgpr_workgroup_info 0
		.amdhsa_system_vgpr_workitem_id 0
		.amdhsa_next_free_vgpr 7
		.amdhsa_next_free_sgpr 7
		.amdhsa_reserve_vcc 1
		.amdhsa_reserve_flat_scratch 0
		.amdhsa_float_round_mode_32 0
		.amdhsa_float_round_mode_16_64 0
		.amdhsa_float_denorm_mode_32 3
		.amdhsa_float_denorm_mode_16_64 3
		.amdhsa_dx10_clamp 1
		.amdhsa_ieee_mode 1
		.amdhsa_fp16_overflow 0
		.amdhsa_exception_fp_ieee_invalid_op 0
		.amdhsa_exception_fp_denorm_src 0
		.amdhsa_exception_fp_ieee_div_zero 0
		.amdhsa_exception_fp_ieee_overflow 0
		.amdhsa_exception_fp_ieee_underflow 0
		.amdhsa_exception_fp_ieee_inexact 0
		.amdhsa_exception_int_div_zero 0
	.end_amdhsa_kernel
	.section	.text._ZL15unary_op_kernelIXadL_ZL6op_elufEEfEvPKT0_PS0_i,"axG",@progbits,_ZL15unary_op_kernelIXadL_ZL6op_elufEEfEvPKT0_PS0_i,comdat
.Lfunc_end39:
	.size	_ZL15unary_op_kernelIXadL_ZL6op_elufEEfEvPKT0_PS0_i, .Lfunc_end39-_ZL15unary_op_kernelIXadL_ZL6op_elufEEfEvPKT0_PS0_i
                                        ; -- End function
	.set _ZL15unary_op_kernelIXadL_ZL6op_elufEEfEvPKT0_PS0_i.num_vgpr, 7
	.set _ZL15unary_op_kernelIXadL_ZL6op_elufEEfEvPKT0_PS0_i.num_agpr, 0
	.set _ZL15unary_op_kernelIXadL_ZL6op_elufEEfEvPKT0_PS0_i.numbered_sgpr, 7
	.set _ZL15unary_op_kernelIXadL_ZL6op_elufEEfEvPKT0_PS0_i.num_named_barrier, 0
	.set _ZL15unary_op_kernelIXadL_ZL6op_elufEEfEvPKT0_PS0_i.private_seg_size, 0
	.set _ZL15unary_op_kernelIXadL_ZL6op_elufEEfEvPKT0_PS0_i.uses_vcc, 1
	.set _ZL15unary_op_kernelIXadL_ZL6op_elufEEfEvPKT0_PS0_i.uses_flat_scratch, 0
	.set _ZL15unary_op_kernelIXadL_ZL6op_elufEEfEvPKT0_PS0_i.has_dyn_sized_stack, 0
	.set _ZL15unary_op_kernelIXadL_ZL6op_elufEEfEvPKT0_PS0_i.has_recursion, 0
	.set _ZL15unary_op_kernelIXadL_ZL6op_elufEEfEvPKT0_PS0_i.has_indirect_call, 0
	.section	.AMDGPU.csdata,"",@progbits
; Kernel info:
; codeLenInByte = 304
; TotalNumSgprs: 11
; NumVgprs: 7
; ScratchSize: 0
; MemoryBound: 0
; FloatMode: 240
; IeeeMode: 1
; LDSByteSize: 0 bytes/workgroup (compile time only)
; SGPRBlocks: 1
; VGPRBlocks: 1
; NumSGPRsForWavesPerEU: 11
; NumVGPRsForWavesPerEU: 7
; Occupancy: 10
; WaveLimiterHint : 0
; COMPUTE_PGM_RSRC2:SCRATCH_EN: 0
; COMPUTE_PGM_RSRC2:USER_SGPR: 6
; COMPUTE_PGM_RSRC2:TRAP_HANDLER: 0
; COMPUTE_PGM_RSRC2:TGID_X_EN: 1
; COMPUTE_PGM_RSRC2:TGID_Y_EN: 0
; COMPUTE_PGM_RSRC2:TGID_Z_EN: 0
; COMPUTE_PGM_RSRC2:TIDIG_COMP_CNT: 0
	.section	.text._ZL15unary_op_kernelIXadL_ZL8op_floorfEE6__halfEvPKT0_PS1_i,"axG",@progbits,_ZL15unary_op_kernelIXadL_ZL8op_floorfEE6__halfEvPKT0_PS1_i,comdat
	.globl	_ZL15unary_op_kernelIXadL_ZL8op_floorfEE6__halfEvPKT0_PS1_i ; -- Begin function _ZL15unary_op_kernelIXadL_ZL8op_floorfEE6__halfEvPKT0_PS1_i
	.p2align	8
	.type	_ZL15unary_op_kernelIXadL_ZL8op_floorfEE6__halfEvPKT0_PS1_i,@function
_ZL15unary_op_kernelIXadL_ZL8op_floorfEE6__halfEvPKT0_PS1_i: ; @_ZL15unary_op_kernelIXadL_ZL8op_floorfEE6__halfEvPKT0_PS1_i
; %bb.0:
	s_load_dword s0, s[4:5], 0x24
	s_load_dword s1, s[4:5], 0x10
	s_waitcnt lgkmcnt(0)
	s_and_b32 s0, s0, 0xffff
	s_mul_i32 s6, s6, s0
	v_add_u32_e32 v0, s6, v0
	v_cmp_gt_i32_e32 vcc, s1, v0
	s_and_saveexec_b64 s[0:1], vcc
	s_cbranch_execz .LBB40_2
; %bb.1:
	s_load_dwordx4 s[0:3], s[4:5], 0x0
	v_ashrrev_i32_e32 v1, 31, v0
	v_lshlrev_b64 v[0:1], 1, v[0:1]
	s_waitcnt lgkmcnt(0)
	v_mov_b32_e32 v3, s1
	v_add_co_u32_e32 v2, vcc, s0, v0
	v_addc_co_u32_e32 v3, vcc, v3, v1, vcc
	global_load_ushort v2, v[2:3], off
	v_mov_b32_e32 v3, s3
	v_add_co_u32_e32 v0, vcc, s2, v0
	v_addc_co_u32_e32 v1, vcc, v3, v1, vcc
	s_waitcnt vmcnt(0)
	v_floor_f16_e32 v2, v2
	global_store_short v[0:1], v2, off
.LBB40_2:
	s_endpgm
	.section	.rodata,"a",@progbits
	.p2align	6, 0x0
	.amdhsa_kernel _ZL15unary_op_kernelIXadL_ZL8op_floorfEE6__halfEvPKT0_PS1_i
		.amdhsa_group_segment_fixed_size 0
		.amdhsa_private_segment_fixed_size 0
		.amdhsa_kernarg_size 280
		.amdhsa_user_sgpr_count 6
		.amdhsa_user_sgpr_private_segment_buffer 1
		.amdhsa_user_sgpr_dispatch_ptr 0
		.amdhsa_user_sgpr_queue_ptr 0
		.amdhsa_user_sgpr_kernarg_segment_ptr 1
		.amdhsa_user_sgpr_dispatch_id 0
		.amdhsa_user_sgpr_flat_scratch_init 0
		.amdhsa_user_sgpr_private_segment_size 0
		.amdhsa_uses_dynamic_stack 0
		.amdhsa_system_sgpr_private_segment_wavefront_offset 0
		.amdhsa_system_sgpr_workgroup_id_x 1
		.amdhsa_system_sgpr_workgroup_id_y 0
		.amdhsa_system_sgpr_workgroup_id_z 0
		.amdhsa_system_sgpr_workgroup_info 0
		.amdhsa_system_vgpr_workitem_id 0
		.amdhsa_next_free_vgpr 4
		.amdhsa_next_free_sgpr 7
		.amdhsa_reserve_vcc 1
		.amdhsa_reserve_flat_scratch 0
		.amdhsa_float_round_mode_32 0
		.amdhsa_float_round_mode_16_64 0
		.amdhsa_float_denorm_mode_32 3
		.amdhsa_float_denorm_mode_16_64 3
		.amdhsa_dx10_clamp 1
		.amdhsa_ieee_mode 1
		.amdhsa_fp16_overflow 0
		.amdhsa_exception_fp_ieee_invalid_op 0
		.amdhsa_exception_fp_denorm_src 0
		.amdhsa_exception_fp_ieee_div_zero 0
		.amdhsa_exception_fp_ieee_overflow 0
		.amdhsa_exception_fp_ieee_underflow 0
		.amdhsa_exception_fp_ieee_inexact 0
		.amdhsa_exception_int_div_zero 0
	.end_amdhsa_kernel
	.section	.text._ZL15unary_op_kernelIXadL_ZL8op_floorfEE6__halfEvPKT0_PS1_i,"axG",@progbits,_ZL15unary_op_kernelIXadL_ZL8op_floorfEE6__halfEvPKT0_PS1_i,comdat
.Lfunc_end40:
	.size	_ZL15unary_op_kernelIXadL_ZL8op_floorfEE6__halfEvPKT0_PS1_i, .Lfunc_end40-_ZL15unary_op_kernelIXadL_ZL8op_floorfEE6__halfEvPKT0_PS1_i
                                        ; -- End function
	.set _ZL15unary_op_kernelIXadL_ZL8op_floorfEE6__halfEvPKT0_PS1_i.num_vgpr, 4
	.set _ZL15unary_op_kernelIXadL_ZL8op_floorfEE6__halfEvPKT0_PS1_i.num_agpr, 0
	.set _ZL15unary_op_kernelIXadL_ZL8op_floorfEE6__halfEvPKT0_PS1_i.numbered_sgpr, 7
	.set _ZL15unary_op_kernelIXadL_ZL8op_floorfEE6__halfEvPKT0_PS1_i.num_named_barrier, 0
	.set _ZL15unary_op_kernelIXadL_ZL8op_floorfEE6__halfEvPKT0_PS1_i.private_seg_size, 0
	.set _ZL15unary_op_kernelIXadL_ZL8op_floorfEE6__halfEvPKT0_PS1_i.uses_vcc, 1
	.set _ZL15unary_op_kernelIXadL_ZL8op_floorfEE6__halfEvPKT0_PS1_i.uses_flat_scratch, 0
	.set _ZL15unary_op_kernelIXadL_ZL8op_floorfEE6__halfEvPKT0_PS1_i.has_dyn_sized_stack, 0
	.set _ZL15unary_op_kernelIXadL_ZL8op_floorfEE6__halfEvPKT0_PS1_i.has_recursion, 0
	.set _ZL15unary_op_kernelIXadL_ZL8op_floorfEE6__halfEvPKT0_PS1_i.has_indirect_call, 0
	.section	.AMDGPU.csdata,"",@progbits
; Kernel info:
; codeLenInByte = 124
; TotalNumSgprs: 11
; NumVgprs: 4
; ScratchSize: 0
; MemoryBound: 0
; FloatMode: 240
; IeeeMode: 1
; LDSByteSize: 0 bytes/workgroup (compile time only)
; SGPRBlocks: 1
; VGPRBlocks: 0
; NumSGPRsForWavesPerEU: 11
; NumVGPRsForWavesPerEU: 4
; Occupancy: 10
; WaveLimiterHint : 0
; COMPUTE_PGM_RSRC2:SCRATCH_EN: 0
; COMPUTE_PGM_RSRC2:USER_SGPR: 6
; COMPUTE_PGM_RSRC2:TRAP_HANDLER: 0
; COMPUTE_PGM_RSRC2:TGID_X_EN: 1
; COMPUTE_PGM_RSRC2:TGID_Y_EN: 0
; COMPUTE_PGM_RSRC2:TGID_Z_EN: 0
; COMPUTE_PGM_RSRC2:TIDIG_COMP_CNT: 0
	.section	.text._ZL15unary_op_kernelIXadL_ZL8op_floorfEEfEvPKT0_PS0_i,"axG",@progbits,_ZL15unary_op_kernelIXadL_ZL8op_floorfEEfEvPKT0_PS0_i,comdat
	.globl	_ZL15unary_op_kernelIXadL_ZL8op_floorfEEfEvPKT0_PS0_i ; -- Begin function _ZL15unary_op_kernelIXadL_ZL8op_floorfEEfEvPKT0_PS0_i
	.p2align	8
	.type	_ZL15unary_op_kernelIXadL_ZL8op_floorfEEfEvPKT0_PS0_i,@function
_ZL15unary_op_kernelIXadL_ZL8op_floorfEEfEvPKT0_PS0_i: ; @_ZL15unary_op_kernelIXadL_ZL8op_floorfEEfEvPKT0_PS0_i
; %bb.0:
	s_load_dword s0, s[4:5], 0x24
	s_load_dword s1, s[4:5], 0x10
	s_waitcnt lgkmcnt(0)
	s_and_b32 s0, s0, 0xffff
	s_mul_i32 s6, s6, s0
	v_add_u32_e32 v0, s6, v0
	v_cmp_gt_i32_e32 vcc, s1, v0
	s_and_saveexec_b64 s[0:1], vcc
	s_cbranch_execz .LBB41_2
; %bb.1:
	s_load_dwordx4 s[0:3], s[4:5], 0x0
	v_ashrrev_i32_e32 v1, 31, v0
	v_lshlrev_b64 v[0:1], 2, v[0:1]
	s_waitcnt lgkmcnt(0)
	v_mov_b32_e32 v3, s1
	v_add_co_u32_e32 v2, vcc, s0, v0
	v_addc_co_u32_e32 v3, vcc, v3, v1, vcc
	global_load_dword v2, v[2:3], off
	v_mov_b32_e32 v3, s3
	v_add_co_u32_e32 v0, vcc, s2, v0
	v_addc_co_u32_e32 v1, vcc, v3, v1, vcc
	s_waitcnt vmcnt(0)
	v_floor_f32_e32 v2, v2
	global_store_dword v[0:1], v2, off
.LBB41_2:
	s_endpgm
	.section	.rodata,"a",@progbits
	.p2align	6, 0x0
	.amdhsa_kernel _ZL15unary_op_kernelIXadL_ZL8op_floorfEEfEvPKT0_PS0_i
		.amdhsa_group_segment_fixed_size 0
		.amdhsa_private_segment_fixed_size 0
		.amdhsa_kernarg_size 280
		.amdhsa_user_sgpr_count 6
		.amdhsa_user_sgpr_private_segment_buffer 1
		.amdhsa_user_sgpr_dispatch_ptr 0
		.amdhsa_user_sgpr_queue_ptr 0
		.amdhsa_user_sgpr_kernarg_segment_ptr 1
		.amdhsa_user_sgpr_dispatch_id 0
		.amdhsa_user_sgpr_flat_scratch_init 0
		.amdhsa_user_sgpr_private_segment_size 0
		.amdhsa_uses_dynamic_stack 0
		.amdhsa_system_sgpr_private_segment_wavefront_offset 0
		.amdhsa_system_sgpr_workgroup_id_x 1
		.amdhsa_system_sgpr_workgroup_id_y 0
		.amdhsa_system_sgpr_workgroup_id_z 0
		.amdhsa_system_sgpr_workgroup_info 0
		.amdhsa_system_vgpr_workitem_id 0
		.amdhsa_next_free_vgpr 4
		.amdhsa_next_free_sgpr 7
		.amdhsa_reserve_vcc 1
		.amdhsa_reserve_flat_scratch 0
		.amdhsa_float_round_mode_32 0
		.amdhsa_float_round_mode_16_64 0
		.amdhsa_float_denorm_mode_32 3
		.amdhsa_float_denorm_mode_16_64 3
		.amdhsa_dx10_clamp 1
		.amdhsa_ieee_mode 1
		.amdhsa_fp16_overflow 0
		.amdhsa_exception_fp_ieee_invalid_op 0
		.amdhsa_exception_fp_denorm_src 0
		.amdhsa_exception_fp_ieee_div_zero 0
		.amdhsa_exception_fp_ieee_overflow 0
		.amdhsa_exception_fp_ieee_underflow 0
		.amdhsa_exception_fp_ieee_inexact 0
		.amdhsa_exception_int_div_zero 0
	.end_amdhsa_kernel
	.section	.text._ZL15unary_op_kernelIXadL_ZL8op_floorfEEfEvPKT0_PS0_i,"axG",@progbits,_ZL15unary_op_kernelIXadL_ZL8op_floorfEEfEvPKT0_PS0_i,comdat
.Lfunc_end41:
	.size	_ZL15unary_op_kernelIXadL_ZL8op_floorfEEfEvPKT0_PS0_i, .Lfunc_end41-_ZL15unary_op_kernelIXadL_ZL8op_floorfEEfEvPKT0_PS0_i
                                        ; -- End function
	.set _ZL15unary_op_kernelIXadL_ZL8op_floorfEEfEvPKT0_PS0_i.num_vgpr, 4
	.set _ZL15unary_op_kernelIXadL_ZL8op_floorfEEfEvPKT0_PS0_i.num_agpr, 0
	.set _ZL15unary_op_kernelIXadL_ZL8op_floorfEEfEvPKT0_PS0_i.numbered_sgpr, 7
	.set _ZL15unary_op_kernelIXadL_ZL8op_floorfEEfEvPKT0_PS0_i.num_named_barrier, 0
	.set _ZL15unary_op_kernelIXadL_ZL8op_floorfEEfEvPKT0_PS0_i.private_seg_size, 0
	.set _ZL15unary_op_kernelIXadL_ZL8op_floorfEEfEvPKT0_PS0_i.uses_vcc, 1
	.set _ZL15unary_op_kernelIXadL_ZL8op_floorfEEfEvPKT0_PS0_i.uses_flat_scratch, 0
	.set _ZL15unary_op_kernelIXadL_ZL8op_floorfEEfEvPKT0_PS0_i.has_dyn_sized_stack, 0
	.set _ZL15unary_op_kernelIXadL_ZL8op_floorfEEfEvPKT0_PS0_i.has_recursion, 0
	.set _ZL15unary_op_kernelIXadL_ZL8op_floorfEEfEvPKT0_PS0_i.has_indirect_call, 0
	.section	.AMDGPU.csdata,"",@progbits
; Kernel info:
; codeLenInByte = 124
; TotalNumSgprs: 11
; NumVgprs: 4
; ScratchSize: 0
; MemoryBound: 0
; FloatMode: 240
; IeeeMode: 1
; LDSByteSize: 0 bytes/workgroup (compile time only)
; SGPRBlocks: 1
; VGPRBlocks: 0
; NumSGPRsForWavesPerEU: 11
; NumVGPRsForWavesPerEU: 4
; Occupancy: 10
; WaveLimiterHint : 0
; COMPUTE_PGM_RSRC2:SCRATCH_EN: 0
; COMPUTE_PGM_RSRC2:USER_SGPR: 6
; COMPUTE_PGM_RSRC2:TRAP_HANDLER: 0
; COMPUTE_PGM_RSRC2:TGID_X_EN: 1
; COMPUTE_PGM_RSRC2:TGID_Y_EN: 0
; COMPUTE_PGM_RSRC2:TGID_Z_EN: 0
; COMPUTE_PGM_RSRC2:TIDIG_COMP_CNT: 0
	.section	.text._ZL15unary_op_kernelIXadL_ZL7op_ceilfEE6__halfEvPKT0_PS1_i,"axG",@progbits,_ZL15unary_op_kernelIXadL_ZL7op_ceilfEE6__halfEvPKT0_PS1_i,comdat
	.globl	_ZL15unary_op_kernelIXadL_ZL7op_ceilfEE6__halfEvPKT0_PS1_i ; -- Begin function _ZL15unary_op_kernelIXadL_ZL7op_ceilfEE6__halfEvPKT0_PS1_i
	.p2align	8
	.type	_ZL15unary_op_kernelIXadL_ZL7op_ceilfEE6__halfEvPKT0_PS1_i,@function
_ZL15unary_op_kernelIXadL_ZL7op_ceilfEE6__halfEvPKT0_PS1_i: ; @_ZL15unary_op_kernelIXadL_ZL7op_ceilfEE6__halfEvPKT0_PS1_i
; %bb.0:
	s_load_dword s0, s[4:5], 0x24
	s_load_dword s1, s[4:5], 0x10
	s_waitcnt lgkmcnt(0)
	s_and_b32 s0, s0, 0xffff
	s_mul_i32 s6, s6, s0
	v_add_u32_e32 v0, s6, v0
	v_cmp_gt_i32_e32 vcc, s1, v0
	s_and_saveexec_b64 s[0:1], vcc
	s_cbranch_execz .LBB42_2
; %bb.1:
	s_load_dwordx4 s[0:3], s[4:5], 0x0
	v_ashrrev_i32_e32 v1, 31, v0
	v_lshlrev_b64 v[0:1], 1, v[0:1]
	s_waitcnt lgkmcnt(0)
	v_mov_b32_e32 v3, s1
	v_add_co_u32_e32 v2, vcc, s0, v0
	v_addc_co_u32_e32 v3, vcc, v3, v1, vcc
	global_load_ushort v2, v[2:3], off
	v_mov_b32_e32 v3, s3
	v_add_co_u32_e32 v0, vcc, s2, v0
	v_addc_co_u32_e32 v1, vcc, v3, v1, vcc
	s_waitcnt vmcnt(0)
	v_ceil_f16_e32 v2, v2
	global_store_short v[0:1], v2, off
.LBB42_2:
	s_endpgm
	.section	.rodata,"a",@progbits
	.p2align	6, 0x0
	.amdhsa_kernel _ZL15unary_op_kernelIXadL_ZL7op_ceilfEE6__halfEvPKT0_PS1_i
		.amdhsa_group_segment_fixed_size 0
		.amdhsa_private_segment_fixed_size 0
		.amdhsa_kernarg_size 280
		.amdhsa_user_sgpr_count 6
		.amdhsa_user_sgpr_private_segment_buffer 1
		.amdhsa_user_sgpr_dispatch_ptr 0
		.amdhsa_user_sgpr_queue_ptr 0
		.amdhsa_user_sgpr_kernarg_segment_ptr 1
		.amdhsa_user_sgpr_dispatch_id 0
		.amdhsa_user_sgpr_flat_scratch_init 0
		.amdhsa_user_sgpr_private_segment_size 0
		.amdhsa_uses_dynamic_stack 0
		.amdhsa_system_sgpr_private_segment_wavefront_offset 0
		.amdhsa_system_sgpr_workgroup_id_x 1
		.amdhsa_system_sgpr_workgroup_id_y 0
		.amdhsa_system_sgpr_workgroup_id_z 0
		.amdhsa_system_sgpr_workgroup_info 0
		.amdhsa_system_vgpr_workitem_id 0
		.amdhsa_next_free_vgpr 4
		.amdhsa_next_free_sgpr 7
		.amdhsa_reserve_vcc 1
		.amdhsa_reserve_flat_scratch 0
		.amdhsa_float_round_mode_32 0
		.amdhsa_float_round_mode_16_64 0
		.amdhsa_float_denorm_mode_32 3
		.amdhsa_float_denorm_mode_16_64 3
		.amdhsa_dx10_clamp 1
		.amdhsa_ieee_mode 1
		.amdhsa_fp16_overflow 0
		.amdhsa_exception_fp_ieee_invalid_op 0
		.amdhsa_exception_fp_denorm_src 0
		.amdhsa_exception_fp_ieee_div_zero 0
		.amdhsa_exception_fp_ieee_overflow 0
		.amdhsa_exception_fp_ieee_underflow 0
		.amdhsa_exception_fp_ieee_inexact 0
		.amdhsa_exception_int_div_zero 0
	.end_amdhsa_kernel
	.section	.text._ZL15unary_op_kernelIXadL_ZL7op_ceilfEE6__halfEvPKT0_PS1_i,"axG",@progbits,_ZL15unary_op_kernelIXadL_ZL7op_ceilfEE6__halfEvPKT0_PS1_i,comdat
.Lfunc_end42:
	.size	_ZL15unary_op_kernelIXadL_ZL7op_ceilfEE6__halfEvPKT0_PS1_i, .Lfunc_end42-_ZL15unary_op_kernelIXadL_ZL7op_ceilfEE6__halfEvPKT0_PS1_i
                                        ; -- End function
	.set _ZL15unary_op_kernelIXadL_ZL7op_ceilfEE6__halfEvPKT0_PS1_i.num_vgpr, 4
	.set _ZL15unary_op_kernelIXadL_ZL7op_ceilfEE6__halfEvPKT0_PS1_i.num_agpr, 0
	.set _ZL15unary_op_kernelIXadL_ZL7op_ceilfEE6__halfEvPKT0_PS1_i.numbered_sgpr, 7
	.set _ZL15unary_op_kernelIXadL_ZL7op_ceilfEE6__halfEvPKT0_PS1_i.num_named_barrier, 0
	.set _ZL15unary_op_kernelIXadL_ZL7op_ceilfEE6__halfEvPKT0_PS1_i.private_seg_size, 0
	.set _ZL15unary_op_kernelIXadL_ZL7op_ceilfEE6__halfEvPKT0_PS1_i.uses_vcc, 1
	.set _ZL15unary_op_kernelIXadL_ZL7op_ceilfEE6__halfEvPKT0_PS1_i.uses_flat_scratch, 0
	.set _ZL15unary_op_kernelIXadL_ZL7op_ceilfEE6__halfEvPKT0_PS1_i.has_dyn_sized_stack, 0
	.set _ZL15unary_op_kernelIXadL_ZL7op_ceilfEE6__halfEvPKT0_PS1_i.has_recursion, 0
	.set _ZL15unary_op_kernelIXadL_ZL7op_ceilfEE6__halfEvPKT0_PS1_i.has_indirect_call, 0
	.section	.AMDGPU.csdata,"",@progbits
; Kernel info:
; codeLenInByte = 124
; TotalNumSgprs: 11
; NumVgprs: 4
; ScratchSize: 0
; MemoryBound: 0
; FloatMode: 240
; IeeeMode: 1
; LDSByteSize: 0 bytes/workgroup (compile time only)
; SGPRBlocks: 1
; VGPRBlocks: 0
; NumSGPRsForWavesPerEU: 11
; NumVGPRsForWavesPerEU: 4
; Occupancy: 10
; WaveLimiterHint : 0
; COMPUTE_PGM_RSRC2:SCRATCH_EN: 0
; COMPUTE_PGM_RSRC2:USER_SGPR: 6
; COMPUTE_PGM_RSRC2:TRAP_HANDLER: 0
; COMPUTE_PGM_RSRC2:TGID_X_EN: 1
; COMPUTE_PGM_RSRC2:TGID_Y_EN: 0
; COMPUTE_PGM_RSRC2:TGID_Z_EN: 0
; COMPUTE_PGM_RSRC2:TIDIG_COMP_CNT: 0
	.section	.text._ZL15unary_op_kernelIXadL_ZL7op_ceilfEEfEvPKT0_PS0_i,"axG",@progbits,_ZL15unary_op_kernelIXadL_ZL7op_ceilfEEfEvPKT0_PS0_i,comdat
	.globl	_ZL15unary_op_kernelIXadL_ZL7op_ceilfEEfEvPKT0_PS0_i ; -- Begin function _ZL15unary_op_kernelIXadL_ZL7op_ceilfEEfEvPKT0_PS0_i
	.p2align	8
	.type	_ZL15unary_op_kernelIXadL_ZL7op_ceilfEEfEvPKT0_PS0_i,@function
_ZL15unary_op_kernelIXadL_ZL7op_ceilfEEfEvPKT0_PS0_i: ; @_ZL15unary_op_kernelIXadL_ZL7op_ceilfEEfEvPKT0_PS0_i
; %bb.0:
	s_load_dword s0, s[4:5], 0x24
	s_load_dword s1, s[4:5], 0x10
	s_waitcnt lgkmcnt(0)
	s_and_b32 s0, s0, 0xffff
	s_mul_i32 s6, s6, s0
	v_add_u32_e32 v0, s6, v0
	v_cmp_gt_i32_e32 vcc, s1, v0
	s_and_saveexec_b64 s[0:1], vcc
	s_cbranch_execz .LBB43_2
; %bb.1:
	s_load_dwordx4 s[0:3], s[4:5], 0x0
	v_ashrrev_i32_e32 v1, 31, v0
	v_lshlrev_b64 v[0:1], 2, v[0:1]
	s_waitcnt lgkmcnt(0)
	v_mov_b32_e32 v3, s1
	v_add_co_u32_e32 v2, vcc, s0, v0
	v_addc_co_u32_e32 v3, vcc, v3, v1, vcc
	global_load_dword v2, v[2:3], off
	v_mov_b32_e32 v3, s3
	v_add_co_u32_e32 v0, vcc, s2, v0
	v_addc_co_u32_e32 v1, vcc, v3, v1, vcc
	s_waitcnt vmcnt(0)
	v_ceil_f32_e32 v2, v2
	global_store_dword v[0:1], v2, off
.LBB43_2:
	s_endpgm
	.section	.rodata,"a",@progbits
	.p2align	6, 0x0
	.amdhsa_kernel _ZL15unary_op_kernelIXadL_ZL7op_ceilfEEfEvPKT0_PS0_i
		.amdhsa_group_segment_fixed_size 0
		.amdhsa_private_segment_fixed_size 0
		.amdhsa_kernarg_size 280
		.amdhsa_user_sgpr_count 6
		.amdhsa_user_sgpr_private_segment_buffer 1
		.amdhsa_user_sgpr_dispatch_ptr 0
		.amdhsa_user_sgpr_queue_ptr 0
		.amdhsa_user_sgpr_kernarg_segment_ptr 1
		.amdhsa_user_sgpr_dispatch_id 0
		.amdhsa_user_sgpr_flat_scratch_init 0
		.amdhsa_user_sgpr_private_segment_size 0
		.amdhsa_uses_dynamic_stack 0
		.amdhsa_system_sgpr_private_segment_wavefront_offset 0
		.amdhsa_system_sgpr_workgroup_id_x 1
		.amdhsa_system_sgpr_workgroup_id_y 0
		.amdhsa_system_sgpr_workgroup_id_z 0
		.amdhsa_system_sgpr_workgroup_info 0
		.amdhsa_system_vgpr_workitem_id 0
		.amdhsa_next_free_vgpr 4
		.amdhsa_next_free_sgpr 7
		.amdhsa_reserve_vcc 1
		.amdhsa_reserve_flat_scratch 0
		.amdhsa_float_round_mode_32 0
		.amdhsa_float_round_mode_16_64 0
		.amdhsa_float_denorm_mode_32 3
		.amdhsa_float_denorm_mode_16_64 3
		.amdhsa_dx10_clamp 1
		.amdhsa_ieee_mode 1
		.amdhsa_fp16_overflow 0
		.amdhsa_exception_fp_ieee_invalid_op 0
		.amdhsa_exception_fp_denorm_src 0
		.amdhsa_exception_fp_ieee_div_zero 0
		.amdhsa_exception_fp_ieee_overflow 0
		.amdhsa_exception_fp_ieee_underflow 0
		.amdhsa_exception_fp_ieee_inexact 0
		.amdhsa_exception_int_div_zero 0
	.end_amdhsa_kernel
	.section	.text._ZL15unary_op_kernelIXadL_ZL7op_ceilfEEfEvPKT0_PS0_i,"axG",@progbits,_ZL15unary_op_kernelIXadL_ZL7op_ceilfEEfEvPKT0_PS0_i,comdat
.Lfunc_end43:
	.size	_ZL15unary_op_kernelIXadL_ZL7op_ceilfEEfEvPKT0_PS0_i, .Lfunc_end43-_ZL15unary_op_kernelIXadL_ZL7op_ceilfEEfEvPKT0_PS0_i
                                        ; -- End function
	.set _ZL15unary_op_kernelIXadL_ZL7op_ceilfEEfEvPKT0_PS0_i.num_vgpr, 4
	.set _ZL15unary_op_kernelIXadL_ZL7op_ceilfEEfEvPKT0_PS0_i.num_agpr, 0
	.set _ZL15unary_op_kernelIXadL_ZL7op_ceilfEEfEvPKT0_PS0_i.numbered_sgpr, 7
	.set _ZL15unary_op_kernelIXadL_ZL7op_ceilfEEfEvPKT0_PS0_i.num_named_barrier, 0
	.set _ZL15unary_op_kernelIXadL_ZL7op_ceilfEEfEvPKT0_PS0_i.private_seg_size, 0
	.set _ZL15unary_op_kernelIXadL_ZL7op_ceilfEEfEvPKT0_PS0_i.uses_vcc, 1
	.set _ZL15unary_op_kernelIXadL_ZL7op_ceilfEEfEvPKT0_PS0_i.uses_flat_scratch, 0
	.set _ZL15unary_op_kernelIXadL_ZL7op_ceilfEEfEvPKT0_PS0_i.has_dyn_sized_stack, 0
	.set _ZL15unary_op_kernelIXadL_ZL7op_ceilfEEfEvPKT0_PS0_i.has_recursion, 0
	.set _ZL15unary_op_kernelIXadL_ZL7op_ceilfEEfEvPKT0_PS0_i.has_indirect_call, 0
	.section	.AMDGPU.csdata,"",@progbits
; Kernel info:
; codeLenInByte = 124
; TotalNumSgprs: 11
; NumVgprs: 4
; ScratchSize: 0
; MemoryBound: 0
; FloatMode: 240
; IeeeMode: 1
; LDSByteSize: 0 bytes/workgroup (compile time only)
; SGPRBlocks: 1
; VGPRBlocks: 0
; NumSGPRsForWavesPerEU: 11
; NumVGPRsForWavesPerEU: 4
; Occupancy: 10
; WaveLimiterHint : 0
; COMPUTE_PGM_RSRC2:SCRATCH_EN: 0
; COMPUTE_PGM_RSRC2:USER_SGPR: 6
; COMPUTE_PGM_RSRC2:TRAP_HANDLER: 0
; COMPUTE_PGM_RSRC2:TGID_X_EN: 1
; COMPUTE_PGM_RSRC2:TGID_Y_EN: 0
; COMPUTE_PGM_RSRC2:TGID_Z_EN: 0
; COMPUTE_PGM_RSRC2:TIDIG_COMP_CNT: 0
	.section	.text._ZL15unary_op_kernelIXadL_ZL8op_roundfEE6__halfEvPKT0_PS1_i,"axG",@progbits,_ZL15unary_op_kernelIXadL_ZL8op_roundfEE6__halfEvPKT0_PS1_i,comdat
	.globl	_ZL15unary_op_kernelIXadL_ZL8op_roundfEE6__halfEvPKT0_PS1_i ; -- Begin function _ZL15unary_op_kernelIXadL_ZL8op_roundfEE6__halfEvPKT0_PS1_i
	.p2align	8
	.type	_ZL15unary_op_kernelIXadL_ZL8op_roundfEE6__halfEvPKT0_PS1_i,@function
_ZL15unary_op_kernelIXadL_ZL8op_roundfEE6__halfEvPKT0_PS1_i: ; @_ZL15unary_op_kernelIXadL_ZL8op_roundfEE6__halfEvPKT0_PS1_i
; %bb.0:
	s_load_dword s0, s[4:5], 0x24
	s_load_dword s1, s[4:5], 0x10
	s_waitcnt lgkmcnt(0)
	s_and_b32 s0, s0, 0xffff
	s_mul_i32 s6, s6, s0
	v_add_u32_e32 v0, s6, v0
	v_cmp_gt_i32_e32 vcc, s1, v0
	s_and_saveexec_b64 s[0:1], vcc
	s_cbranch_execz .LBB44_2
; %bb.1:
	s_load_dwordx4 s[0:3], s[4:5], 0x0
	v_ashrrev_i32_e32 v1, 31, v0
	v_lshlrev_b64 v[0:1], 1, v[0:1]
	s_waitcnt lgkmcnt(0)
	v_mov_b32_e32 v3, s1
	v_add_co_u32_e32 v2, vcc, s0, v0
	v_addc_co_u32_e32 v3, vcc, v3, v1, vcc
	global_load_ushort v2, v[2:3], off
	v_mov_b32_e32 v3, 0x3c00
	s_movk_i32 s0, 0x7fff
	v_mov_b32_e32 v4, s3
	s_waitcnt vmcnt(0)
	v_trunc_f16_e32 v5, v2
	v_sub_f16_e32 v6, v2, v5
	v_cmp_ge_f16_e64 vcc, |v6|, 0.5
	v_cndmask_b32_e32 v3, 0, v3, vcc
	v_bfi_b32 v2, s0, v3, v2
	v_add_co_u32_e32 v0, vcc, s2, v0
	v_add_f16_e32 v2, v5, v2
	v_addc_co_u32_e32 v1, vcc, v4, v1, vcc
	global_store_short v[0:1], v2, off
.LBB44_2:
	s_endpgm
	.section	.rodata,"a",@progbits
	.p2align	6, 0x0
	.amdhsa_kernel _ZL15unary_op_kernelIXadL_ZL8op_roundfEE6__halfEvPKT0_PS1_i
		.amdhsa_group_segment_fixed_size 0
		.amdhsa_private_segment_fixed_size 0
		.amdhsa_kernarg_size 280
		.amdhsa_user_sgpr_count 6
		.amdhsa_user_sgpr_private_segment_buffer 1
		.amdhsa_user_sgpr_dispatch_ptr 0
		.amdhsa_user_sgpr_queue_ptr 0
		.amdhsa_user_sgpr_kernarg_segment_ptr 1
		.amdhsa_user_sgpr_dispatch_id 0
		.amdhsa_user_sgpr_flat_scratch_init 0
		.amdhsa_user_sgpr_private_segment_size 0
		.amdhsa_uses_dynamic_stack 0
		.amdhsa_system_sgpr_private_segment_wavefront_offset 0
		.amdhsa_system_sgpr_workgroup_id_x 1
		.amdhsa_system_sgpr_workgroup_id_y 0
		.amdhsa_system_sgpr_workgroup_id_z 0
		.amdhsa_system_sgpr_workgroup_info 0
		.amdhsa_system_vgpr_workitem_id 0
		.amdhsa_next_free_vgpr 7
		.amdhsa_next_free_sgpr 7
		.amdhsa_reserve_vcc 1
		.amdhsa_reserve_flat_scratch 0
		.amdhsa_float_round_mode_32 0
		.amdhsa_float_round_mode_16_64 0
		.amdhsa_float_denorm_mode_32 3
		.amdhsa_float_denorm_mode_16_64 3
		.amdhsa_dx10_clamp 1
		.amdhsa_ieee_mode 1
		.amdhsa_fp16_overflow 0
		.amdhsa_exception_fp_ieee_invalid_op 0
		.amdhsa_exception_fp_denorm_src 0
		.amdhsa_exception_fp_ieee_div_zero 0
		.amdhsa_exception_fp_ieee_overflow 0
		.amdhsa_exception_fp_ieee_underflow 0
		.amdhsa_exception_fp_ieee_inexact 0
		.amdhsa_exception_int_div_zero 0
	.end_amdhsa_kernel
	.section	.text._ZL15unary_op_kernelIXadL_ZL8op_roundfEE6__halfEvPKT0_PS1_i,"axG",@progbits,_ZL15unary_op_kernelIXadL_ZL8op_roundfEE6__halfEvPKT0_PS1_i,comdat
.Lfunc_end44:
	.size	_ZL15unary_op_kernelIXadL_ZL8op_roundfEE6__halfEvPKT0_PS1_i, .Lfunc_end44-_ZL15unary_op_kernelIXadL_ZL8op_roundfEE6__halfEvPKT0_PS1_i
                                        ; -- End function
	.set _ZL15unary_op_kernelIXadL_ZL8op_roundfEE6__halfEvPKT0_PS1_i.num_vgpr, 7
	.set _ZL15unary_op_kernelIXadL_ZL8op_roundfEE6__halfEvPKT0_PS1_i.num_agpr, 0
	.set _ZL15unary_op_kernelIXadL_ZL8op_roundfEE6__halfEvPKT0_PS1_i.numbered_sgpr, 7
	.set _ZL15unary_op_kernelIXadL_ZL8op_roundfEE6__halfEvPKT0_PS1_i.num_named_barrier, 0
	.set _ZL15unary_op_kernelIXadL_ZL8op_roundfEE6__halfEvPKT0_PS1_i.private_seg_size, 0
	.set _ZL15unary_op_kernelIXadL_ZL8op_roundfEE6__halfEvPKT0_PS1_i.uses_vcc, 1
	.set _ZL15unary_op_kernelIXadL_ZL8op_roundfEE6__halfEvPKT0_PS1_i.uses_flat_scratch, 0
	.set _ZL15unary_op_kernelIXadL_ZL8op_roundfEE6__halfEvPKT0_PS1_i.has_dyn_sized_stack, 0
	.set _ZL15unary_op_kernelIXadL_ZL8op_roundfEE6__halfEvPKT0_PS1_i.has_recursion, 0
	.set _ZL15unary_op_kernelIXadL_ZL8op_roundfEE6__halfEvPKT0_PS1_i.has_indirect_call, 0
	.section	.AMDGPU.csdata,"",@progbits
; Kernel info:
; codeLenInByte = 164
; TotalNumSgprs: 11
; NumVgprs: 7
; ScratchSize: 0
; MemoryBound: 0
; FloatMode: 240
; IeeeMode: 1
; LDSByteSize: 0 bytes/workgroup (compile time only)
; SGPRBlocks: 1
; VGPRBlocks: 1
; NumSGPRsForWavesPerEU: 11
; NumVGPRsForWavesPerEU: 7
; Occupancy: 10
; WaveLimiterHint : 0
; COMPUTE_PGM_RSRC2:SCRATCH_EN: 0
; COMPUTE_PGM_RSRC2:USER_SGPR: 6
; COMPUTE_PGM_RSRC2:TRAP_HANDLER: 0
; COMPUTE_PGM_RSRC2:TGID_X_EN: 1
; COMPUTE_PGM_RSRC2:TGID_Y_EN: 0
; COMPUTE_PGM_RSRC2:TGID_Z_EN: 0
; COMPUTE_PGM_RSRC2:TIDIG_COMP_CNT: 0
	.section	.text._ZL15unary_op_kernelIXadL_ZL8op_roundfEEfEvPKT0_PS0_i,"axG",@progbits,_ZL15unary_op_kernelIXadL_ZL8op_roundfEEfEvPKT0_PS0_i,comdat
	.globl	_ZL15unary_op_kernelIXadL_ZL8op_roundfEEfEvPKT0_PS0_i ; -- Begin function _ZL15unary_op_kernelIXadL_ZL8op_roundfEEfEvPKT0_PS0_i
	.p2align	8
	.type	_ZL15unary_op_kernelIXadL_ZL8op_roundfEEfEvPKT0_PS0_i,@function
_ZL15unary_op_kernelIXadL_ZL8op_roundfEEfEvPKT0_PS0_i: ; @_ZL15unary_op_kernelIXadL_ZL8op_roundfEEfEvPKT0_PS0_i
; %bb.0:
	s_load_dword s0, s[4:5], 0x24
	s_load_dword s1, s[4:5], 0x10
	s_waitcnt lgkmcnt(0)
	s_and_b32 s0, s0, 0xffff
	s_mul_i32 s6, s6, s0
	v_add_u32_e32 v0, s6, v0
	v_cmp_gt_i32_e32 vcc, s1, v0
	s_and_saveexec_b64 s[0:1], vcc
	s_cbranch_execz .LBB45_2
; %bb.1:
	s_load_dwordx4 s[0:3], s[4:5], 0x0
	v_ashrrev_i32_e32 v1, 31, v0
	v_lshlrev_b64 v[0:1], 2, v[0:1]
	s_waitcnt lgkmcnt(0)
	v_mov_b32_e32 v3, s1
	v_add_co_u32_e32 v2, vcc, s0, v0
	v_addc_co_u32_e32 v3, vcc, v3, v1, vcc
	global_load_dword v2, v[2:3], off
	v_mov_b32_e32 v3, s3
	v_add_co_u32_e32 v0, vcc, s2, v0
	v_addc_co_u32_e32 v1, vcc, v3, v1, vcc
	s_waitcnt vmcnt(0)
	v_trunc_f32_e32 v3, v2
	v_sub_f32_e32 v4, v2, v3
	v_cmp_ge_f32_e64 s[0:1], |v4|, 0.5
	v_cndmask_b32_e64 v4, 0, 1.0, s[0:1]
	s_brev_b32 s0, -2
	v_bfi_b32 v2, s0, v4, v2
	v_add_f32_e32 v2, v3, v2
	global_store_dword v[0:1], v2, off
.LBB45_2:
	s_endpgm
	.section	.rodata,"a",@progbits
	.p2align	6, 0x0
	.amdhsa_kernel _ZL15unary_op_kernelIXadL_ZL8op_roundfEEfEvPKT0_PS0_i
		.amdhsa_group_segment_fixed_size 0
		.amdhsa_private_segment_fixed_size 0
		.amdhsa_kernarg_size 280
		.amdhsa_user_sgpr_count 6
		.amdhsa_user_sgpr_private_segment_buffer 1
		.amdhsa_user_sgpr_dispatch_ptr 0
		.amdhsa_user_sgpr_queue_ptr 0
		.amdhsa_user_sgpr_kernarg_segment_ptr 1
		.amdhsa_user_sgpr_dispatch_id 0
		.amdhsa_user_sgpr_flat_scratch_init 0
		.amdhsa_user_sgpr_private_segment_size 0
		.amdhsa_uses_dynamic_stack 0
		.amdhsa_system_sgpr_private_segment_wavefront_offset 0
		.amdhsa_system_sgpr_workgroup_id_x 1
		.amdhsa_system_sgpr_workgroup_id_y 0
		.amdhsa_system_sgpr_workgroup_id_z 0
		.amdhsa_system_sgpr_workgroup_info 0
		.amdhsa_system_vgpr_workitem_id 0
		.amdhsa_next_free_vgpr 5
		.amdhsa_next_free_sgpr 7
		.amdhsa_reserve_vcc 1
		.amdhsa_reserve_flat_scratch 0
		.amdhsa_float_round_mode_32 0
		.amdhsa_float_round_mode_16_64 0
		.amdhsa_float_denorm_mode_32 3
		.amdhsa_float_denorm_mode_16_64 3
		.amdhsa_dx10_clamp 1
		.amdhsa_ieee_mode 1
		.amdhsa_fp16_overflow 0
		.amdhsa_exception_fp_ieee_invalid_op 0
		.amdhsa_exception_fp_denorm_src 0
		.amdhsa_exception_fp_ieee_div_zero 0
		.amdhsa_exception_fp_ieee_overflow 0
		.amdhsa_exception_fp_ieee_underflow 0
		.amdhsa_exception_fp_ieee_inexact 0
		.amdhsa_exception_int_div_zero 0
	.end_amdhsa_kernel
	.section	.text._ZL15unary_op_kernelIXadL_ZL8op_roundfEEfEvPKT0_PS0_i,"axG",@progbits,_ZL15unary_op_kernelIXadL_ZL8op_roundfEEfEvPKT0_PS0_i,comdat
.Lfunc_end45:
	.size	_ZL15unary_op_kernelIXadL_ZL8op_roundfEEfEvPKT0_PS0_i, .Lfunc_end45-_ZL15unary_op_kernelIXadL_ZL8op_roundfEEfEvPKT0_PS0_i
                                        ; -- End function
	.set _ZL15unary_op_kernelIXadL_ZL8op_roundfEEfEvPKT0_PS0_i.num_vgpr, 5
	.set _ZL15unary_op_kernelIXadL_ZL8op_roundfEEfEvPKT0_PS0_i.num_agpr, 0
	.set _ZL15unary_op_kernelIXadL_ZL8op_roundfEEfEvPKT0_PS0_i.numbered_sgpr, 7
	.set _ZL15unary_op_kernelIXadL_ZL8op_roundfEEfEvPKT0_PS0_i.num_named_barrier, 0
	.set _ZL15unary_op_kernelIXadL_ZL8op_roundfEEfEvPKT0_PS0_i.private_seg_size, 0
	.set _ZL15unary_op_kernelIXadL_ZL8op_roundfEEfEvPKT0_PS0_i.uses_vcc, 1
	.set _ZL15unary_op_kernelIXadL_ZL8op_roundfEEfEvPKT0_PS0_i.uses_flat_scratch, 0
	.set _ZL15unary_op_kernelIXadL_ZL8op_roundfEEfEvPKT0_PS0_i.has_dyn_sized_stack, 0
	.set _ZL15unary_op_kernelIXadL_ZL8op_roundfEEfEvPKT0_PS0_i.has_recursion, 0
	.set _ZL15unary_op_kernelIXadL_ZL8op_roundfEEfEvPKT0_PS0_i.has_indirect_call, 0
	.section	.AMDGPU.csdata,"",@progbits
; Kernel info:
; codeLenInByte = 160
; TotalNumSgprs: 11
; NumVgprs: 5
; ScratchSize: 0
; MemoryBound: 0
; FloatMode: 240
; IeeeMode: 1
; LDSByteSize: 0 bytes/workgroup (compile time only)
; SGPRBlocks: 1
; VGPRBlocks: 1
; NumSGPRsForWavesPerEU: 11
; NumVGPRsForWavesPerEU: 5
; Occupancy: 10
; WaveLimiterHint : 0
; COMPUTE_PGM_RSRC2:SCRATCH_EN: 0
; COMPUTE_PGM_RSRC2:USER_SGPR: 6
; COMPUTE_PGM_RSRC2:TRAP_HANDLER: 0
; COMPUTE_PGM_RSRC2:TGID_X_EN: 1
; COMPUTE_PGM_RSRC2:TGID_Y_EN: 0
; COMPUTE_PGM_RSRC2:TGID_Z_EN: 0
; COMPUTE_PGM_RSRC2:TIDIG_COMP_CNT: 0
	.section	.text._ZL15unary_op_kernelIXadL_ZL8op_truncfEE6__halfEvPKT0_PS1_i,"axG",@progbits,_ZL15unary_op_kernelIXadL_ZL8op_truncfEE6__halfEvPKT0_PS1_i,comdat
	.globl	_ZL15unary_op_kernelIXadL_ZL8op_truncfEE6__halfEvPKT0_PS1_i ; -- Begin function _ZL15unary_op_kernelIXadL_ZL8op_truncfEE6__halfEvPKT0_PS1_i
	.p2align	8
	.type	_ZL15unary_op_kernelIXadL_ZL8op_truncfEE6__halfEvPKT0_PS1_i,@function
_ZL15unary_op_kernelIXadL_ZL8op_truncfEE6__halfEvPKT0_PS1_i: ; @_ZL15unary_op_kernelIXadL_ZL8op_truncfEE6__halfEvPKT0_PS1_i
; %bb.0:
	s_load_dword s0, s[4:5], 0x24
	s_load_dword s1, s[4:5], 0x10
	s_waitcnt lgkmcnt(0)
	s_and_b32 s0, s0, 0xffff
	s_mul_i32 s6, s6, s0
	v_add_u32_e32 v0, s6, v0
	v_cmp_gt_i32_e32 vcc, s1, v0
	s_and_saveexec_b64 s[0:1], vcc
	s_cbranch_execz .LBB46_2
; %bb.1:
	s_load_dwordx4 s[0:3], s[4:5], 0x0
	v_ashrrev_i32_e32 v1, 31, v0
	v_lshlrev_b64 v[0:1], 1, v[0:1]
	s_waitcnt lgkmcnt(0)
	v_mov_b32_e32 v3, s1
	v_add_co_u32_e32 v2, vcc, s0, v0
	v_addc_co_u32_e32 v3, vcc, v3, v1, vcc
	global_load_ushort v2, v[2:3], off
	v_mov_b32_e32 v3, s3
	v_add_co_u32_e32 v0, vcc, s2, v0
	v_addc_co_u32_e32 v1, vcc, v3, v1, vcc
	s_waitcnt vmcnt(0)
	v_trunc_f16_e32 v2, v2
	global_store_short v[0:1], v2, off
.LBB46_2:
	s_endpgm
	.section	.rodata,"a",@progbits
	.p2align	6, 0x0
	.amdhsa_kernel _ZL15unary_op_kernelIXadL_ZL8op_truncfEE6__halfEvPKT0_PS1_i
		.amdhsa_group_segment_fixed_size 0
		.amdhsa_private_segment_fixed_size 0
		.amdhsa_kernarg_size 280
		.amdhsa_user_sgpr_count 6
		.amdhsa_user_sgpr_private_segment_buffer 1
		.amdhsa_user_sgpr_dispatch_ptr 0
		.amdhsa_user_sgpr_queue_ptr 0
		.amdhsa_user_sgpr_kernarg_segment_ptr 1
		.amdhsa_user_sgpr_dispatch_id 0
		.amdhsa_user_sgpr_flat_scratch_init 0
		.amdhsa_user_sgpr_private_segment_size 0
		.amdhsa_uses_dynamic_stack 0
		.amdhsa_system_sgpr_private_segment_wavefront_offset 0
		.amdhsa_system_sgpr_workgroup_id_x 1
		.amdhsa_system_sgpr_workgroup_id_y 0
		.amdhsa_system_sgpr_workgroup_id_z 0
		.amdhsa_system_sgpr_workgroup_info 0
		.amdhsa_system_vgpr_workitem_id 0
		.amdhsa_next_free_vgpr 4
		.amdhsa_next_free_sgpr 7
		.amdhsa_reserve_vcc 1
		.amdhsa_reserve_flat_scratch 0
		.amdhsa_float_round_mode_32 0
		.amdhsa_float_round_mode_16_64 0
		.amdhsa_float_denorm_mode_32 3
		.amdhsa_float_denorm_mode_16_64 3
		.amdhsa_dx10_clamp 1
		.amdhsa_ieee_mode 1
		.amdhsa_fp16_overflow 0
		.amdhsa_exception_fp_ieee_invalid_op 0
		.amdhsa_exception_fp_denorm_src 0
		.amdhsa_exception_fp_ieee_div_zero 0
		.amdhsa_exception_fp_ieee_overflow 0
		.amdhsa_exception_fp_ieee_underflow 0
		.amdhsa_exception_fp_ieee_inexact 0
		.amdhsa_exception_int_div_zero 0
	.end_amdhsa_kernel
	.section	.text._ZL15unary_op_kernelIXadL_ZL8op_truncfEE6__halfEvPKT0_PS1_i,"axG",@progbits,_ZL15unary_op_kernelIXadL_ZL8op_truncfEE6__halfEvPKT0_PS1_i,comdat
.Lfunc_end46:
	.size	_ZL15unary_op_kernelIXadL_ZL8op_truncfEE6__halfEvPKT0_PS1_i, .Lfunc_end46-_ZL15unary_op_kernelIXadL_ZL8op_truncfEE6__halfEvPKT0_PS1_i
                                        ; -- End function
	.set _ZL15unary_op_kernelIXadL_ZL8op_truncfEE6__halfEvPKT0_PS1_i.num_vgpr, 4
	.set _ZL15unary_op_kernelIXadL_ZL8op_truncfEE6__halfEvPKT0_PS1_i.num_agpr, 0
	.set _ZL15unary_op_kernelIXadL_ZL8op_truncfEE6__halfEvPKT0_PS1_i.numbered_sgpr, 7
	.set _ZL15unary_op_kernelIXadL_ZL8op_truncfEE6__halfEvPKT0_PS1_i.num_named_barrier, 0
	.set _ZL15unary_op_kernelIXadL_ZL8op_truncfEE6__halfEvPKT0_PS1_i.private_seg_size, 0
	.set _ZL15unary_op_kernelIXadL_ZL8op_truncfEE6__halfEvPKT0_PS1_i.uses_vcc, 1
	.set _ZL15unary_op_kernelIXadL_ZL8op_truncfEE6__halfEvPKT0_PS1_i.uses_flat_scratch, 0
	.set _ZL15unary_op_kernelIXadL_ZL8op_truncfEE6__halfEvPKT0_PS1_i.has_dyn_sized_stack, 0
	.set _ZL15unary_op_kernelIXadL_ZL8op_truncfEE6__halfEvPKT0_PS1_i.has_recursion, 0
	.set _ZL15unary_op_kernelIXadL_ZL8op_truncfEE6__halfEvPKT0_PS1_i.has_indirect_call, 0
	.section	.AMDGPU.csdata,"",@progbits
; Kernel info:
; codeLenInByte = 124
; TotalNumSgprs: 11
; NumVgprs: 4
; ScratchSize: 0
; MemoryBound: 0
; FloatMode: 240
; IeeeMode: 1
; LDSByteSize: 0 bytes/workgroup (compile time only)
; SGPRBlocks: 1
; VGPRBlocks: 0
; NumSGPRsForWavesPerEU: 11
; NumVGPRsForWavesPerEU: 4
; Occupancy: 10
; WaveLimiterHint : 0
; COMPUTE_PGM_RSRC2:SCRATCH_EN: 0
; COMPUTE_PGM_RSRC2:USER_SGPR: 6
; COMPUTE_PGM_RSRC2:TRAP_HANDLER: 0
; COMPUTE_PGM_RSRC2:TGID_X_EN: 1
; COMPUTE_PGM_RSRC2:TGID_Y_EN: 0
; COMPUTE_PGM_RSRC2:TGID_Z_EN: 0
; COMPUTE_PGM_RSRC2:TIDIG_COMP_CNT: 0
	.section	.text._ZL15unary_op_kernelIXadL_ZL8op_truncfEEfEvPKT0_PS0_i,"axG",@progbits,_ZL15unary_op_kernelIXadL_ZL8op_truncfEEfEvPKT0_PS0_i,comdat
	.globl	_ZL15unary_op_kernelIXadL_ZL8op_truncfEEfEvPKT0_PS0_i ; -- Begin function _ZL15unary_op_kernelIXadL_ZL8op_truncfEEfEvPKT0_PS0_i
	.p2align	8
	.type	_ZL15unary_op_kernelIXadL_ZL8op_truncfEEfEvPKT0_PS0_i,@function
_ZL15unary_op_kernelIXadL_ZL8op_truncfEEfEvPKT0_PS0_i: ; @_ZL15unary_op_kernelIXadL_ZL8op_truncfEEfEvPKT0_PS0_i
; %bb.0:
	s_load_dword s0, s[4:5], 0x24
	s_load_dword s1, s[4:5], 0x10
	s_waitcnt lgkmcnt(0)
	s_and_b32 s0, s0, 0xffff
	s_mul_i32 s6, s6, s0
	v_add_u32_e32 v0, s6, v0
	v_cmp_gt_i32_e32 vcc, s1, v0
	s_and_saveexec_b64 s[0:1], vcc
	s_cbranch_execz .LBB47_2
; %bb.1:
	s_load_dwordx4 s[0:3], s[4:5], 0x0
	v_ashrrev_i32_e32 v1, 31, v0
	v_lshlrev_b64 v[0:1], 2, v[0:1]
	s_waitcnt lgkmcnt(0)
	v_mov_b32_e32 v3, s1
	v_add_co_u32_e32 v2, vcc, s0, v0
	v_addc_co_u32_e32 v3, vcc, v3, v1, vcc
	global_load_dword v2, v[2:3], off
	v_mov_b32_e32 v3, s3
	v_add_co_u32_e32 v0, vcc, s2, v0
	v_addc_co_u32_e32 v1, vcc, v3, v1, vcc
	s_waitcnt vmcnt(0)
	v_trunc_f32_e32 v2, v2
	global_store_dword v[0:1], v2, off
.LBB47_2:
	s_endpgm
	.section	.rodata,"a",@progbits
	.p2align	6, 0x0
	.amdhsa_kernel _ZL15unary_op_kernelIXadL_ZL8op_truncfEEfEvPKT0_PS0_i
		.amdhsa_group_segment_fixed_size 0
		.amdhsa_private_segment_fixed_size 0
		.amdhsa_kernarg_size 280
		.amdhsa_user_sgpr_count 6
		.amdhsa_user_sgpr_private_segment_buffer 1
		.amdhsa_user_sgpr_dispatch_ptr 0
		.amdhsa_user_sgpr_queue_ptr 0
		.amdhsa_user_sgpr_kernarg_segment_ptr 1
		.amdhsa_user_sgpr_dispatch_id 0
		.amdhsa_user_sgpr_flat_scratch_init 0
		.amdhsa_user_sgpr_private_segment_size 0
		.amdhsa_uses_dynamic_stack 0
		.amdhsa_system_sgpr_private_segment_wavefront_offset 0
		.amdhsa_system_sgpr_workgroup_id_x 1
		.amdhsa_system_sgpr_workgroup_id_y 0
		.amdhsa_system_sgpr_workgroup_id_z 0
		.amdhsa_system_sgpr_workgroup_info 0
		.amdhsa_system_vgpr_workitem_id 0
		.amdhsa_next_free_vgpr 4
		.amdhsa_next_free_sgpr 7
		.amdhsa_reserve_vcc 1
		.amdhsa_reserve_flat_scratch 0
		.amdhsa_float_round_mode_32 0
		.amdhsa_float_round_mode_16_64 0
		.amdhsa_float_denorm_mode_32 3
		.amdhsa_float_denorm_mode_16_64 3
		.amdhsa_dx10_clamp 1
		.amdhsa_ieee_mode 1
		.amdhsa_fp16_overflow 0
		.amdhsa_exception_fp_ieee_invalid_op 0
		.amdhsa_exception_fp_denorm_src 0
		.amdhsa_exception_fp_ieee_div_zero 0
		.amdhsa_exception_fp_ieee_overflow 0
		.amdhsa_exception_fp_ieee_underflow 0
		.amdhsa_exception_fp_ieee_inexact 0
		.amdhsa_exception_int_div_zero 0
	.end_amdhsa_kernel
	.section	.text._ZL15unary_op_kernelIXadL_ZL8op_truncfEEfEvPKT0_PS0_i,"axG",@progbits,_ZL15unary_op_kernelIXadL_ZL8op_truncfEEfEvPKT0_PS0_i,comdat
.Lfunc_end47:
	.size	_ZL15unary_op_kernelIXadL_ZL8op_truncfEEfEvPKT0_PS0_i, .Lfunc_end47-_ZL15unary_op_kernelIXadL_ZL8op_truncfEEfEvPKT0_PS0_i
                                        ; -- End function
	.set _ZL15unary_op_kernelIXadL_ZL8op_truncfEEfEvPKT0_PS0_i.num_vgpr, 4
	.set _ZL15unary_op_kernelIXadL_ZL8op_truncfEEfEvPKT0_PS0_i.num_agpr, 0
	.set _ZL15unary_op_kernelIXadL_ZL8op_truncfEEfEvPKT0_PS0_i.numbered_sgpr, 7
	.set _ZL15unary_op_kernelIXadL_ZL8op_truncfEEfEvPKT0_PS0_i.num_named_barrier, 0
	.set _ZL15unary_op_kernelIXadL_ZL8op_truncfEEfEvPKT0_PS0_i.private_seg_size, 0
	.set _ZL15unary_op_kernelIXadL_ZL8op_truncfEEfEvPKT0_PS0_i.uses_vcc, 1
	.set _ZL15unary_op_kernelIXadL_ZL8op_truncfEEfEvPKT0_PS0_i.uses_flat_scratch, 0
	.set _ZL15unary_op_kernelIXadL_ZL8op_truncfEEfEvPKT0_PS0_i.has_dyn_sized_stack, 0
	.set _ZL15unary_op_kernelIXadL_ZL8op_truncfEEfEvPKT0_PS0_i.has_recursion, 0
	.set _ZL15unary_op_kernelIXadL_ZL8op_truncfEEfEvPKT0_PS0_i.has_indirect_call, 0
	.section	.AMDGPU.csdata,"",@progbits
; Kernel info:
; codeLenInByte = 124
; TotalNumSgprs: 11
; NumVgprs: 4
; ScratchSize: 0
; MemoryBound: 0
; FloatMode: 240
; IeeeMode: 1
; LDSByteSize: 0 bytes/workgroup (compile time only)
; SGPRBlocks: 1
; VGPRBlocks: 0
; NumSGPRsForWavesPerEU: 11
; NumVGPRsForWavesPerEU: 4
; Occupancy: 10
; WaveLimiterHint : 0
; COMPUTE_PGM_RSRC2:SCRATCH_EN: 0
; COMPUTE_PGM_RSRC2:USER_SGPR: 6
; COMPUTE_PGM_RSRC2:TRAP_HANDLER: 0
; COMPUTE_PGM_RSRC2:TGID_X_EN: 1
; COMPUTE_PGM_RSRC2:TGID_Y_EN: 0
; COMPUTE_PGM_RSRC2:TGID_Z_EN: 0
; COMPUTE_PGM_RSRC2:TIDIG_COMP_CNT: 0
	.section	.text._ZL15unary_op_kernelIXadL_ZL8op_expm1fEE6__halfEvPKT0_PS1_i,"axG",@progbits,_ZL15unary_op_kernelIXadL_ZL8op_expm1fEE6__halfEvPKT0_PS1_i,comdat
	.globl	_ZL15unary_op_kernelIXadL_ZL8op_expm1fEE6__halfEvPKT0_PS1_i ; -- Begin function _ZL15unary_op_kernelIXadL_ZL8op_expm1fEE6__halfEvPKT0_PS1_i
	.p2align	8
	.type	_ZL15unary_op_kernelIXadL_ZL8op_expm1fEE6__halfEvPKT0_PS1_i,@function
_ZL15unary_op_kernelIXadL_ZL8op_expm1fEE6__halfEvPKT0_PS1_i: ; @_ZL15unary_op_kernelIXadL_ZL8op_expm1fEE6__halfEvPKT0_PS1_i
; %bb.0:
	s_load_dword s0, s[4:5], 0x24
	s_load_dword s1, s[4:5], 0x10
	s_waitcnt lgkmcnt(0)
	s_and_b32 s0, s0, 0xffff
	s_mul_i32 s6, s6, s0
	v_add_u32_e32 v0, s6, v0
	v_cmp_gt_i32_e32 vcc, s1, v0
	s_and_saveexec_b64 s[0:1], vcc
	s_cbranch_execz .LBB48_2
; %bb.1:
	s_load_dwordx4 s[0:3], s[4:5], 0x0
	v_ashrrev_i32_e32 v1, 31, v0
	v_lshlrev_b64 v[0:1], 1, v[0:1]
	v_mov_b32_e32 v4, 0x3c0887f9
	v_mov_b32_e32 v5, 0x3d2aaa81
	s_waitcnt lgkmcnt(0)
	v_mov_b32_e32 v3, s1
	v_add_co_u32_e32 v2, vcc, s0, v0
	v_addc_co_u32_e32 v3, vcc, v3, v1, vcc
	global_load_ushort v2, v[2:3], off
	s_mov_b32 s0, 0xbf317218
	v_mov_b32_e32 v3, 0x3ab69700
	v_mov_b32_e32 v6, 0x3e2aaaab
	s_mov_b32 s1, 0x43000000
	v_mov_b32_e32 v7, 0x7f000000
	s_mov_b32 s4, 0x42b17217
	;; [unrolled: 2-line block ×3, first 2 shown]
	s_waitcnt vmcnt(0)
	v_cvt_f32_f16_e32 v8, v2
	v_mul_f32_e32 v10, 0x3fb8aa3b, v8
	v_rndne_f32_e32 v10, v10
	v_fma_mix_f32 v11, v10, s0, v2 op_sel_hi:[0,0,1]
	v_fmac_f32_e32 v11, 0x3102e308, v10
	v_cvt_i32_f32_e32 v12, v10
	v_fmac_f32_e32 v3, 0x395133b1, v11
	v_fmac_f32_e32 v4, v11, v3
	;; [unrolled: 1-line block ×4, first 2 shown]
	v_ldexp_f32 v3, 1.0, v12
	v_cmp_eq_f32_e32 vcc, s1, v10
	v_fma_f32 v4, v11, v6, 0.5
	v_cndmask_b32_e32 v3, v3, v7, vcc
	v_mul_f32_e32 v4, v11, v4
	v_add_f32_e32 v5, -1.0, v3
	v_fmac_f32_e32 v11, v11, v4
	v_fmac_f32_e32 v5, v3, v11
	v_add_f32_e32 v3, v5, v5
	v_cndmask_b32_e32 v3, v5, v3, vcc
	v_cmp_nlt_f32_e32 vcc, s4, v8
	v_cndmask_b32_e32 v3, v9, v3, vcc
	v_cvt_f16_f32_e32 v3, v3
	v_mov_b32_e32 v4, 0xbc00
	v_cmp_ngt_f16_e32 vcc, s5, v2
	v_mov_b32_e32 v5, s3
	v_cndmask_b32_e32 v2, v4, v3, vcc
	v_add_co_u32_e32 v0, vcc, s2, v0
	v_addc_co_u32_e32 v1, vcc, v5, v1, vcc
	global_store_short v[0:1], v2, off
.LBB48_2:
	s_endpgm
	.section	.rodata,"a",@progbits
	.p2align	6, 0x0
	.amdhsa_kernel _ZL15unary_op_kernelIXadL_ZL8op_expm1fEE6__halfEvPKT0_PS1_i
		.amdhsa_group_segment_fixed_size 0
		.amdhsa_private_segment_fixed_size 0
		.amdhsa_kernarg_size 280
		.amdhsa_user_sgpr_count 6
		.amdhsa_user_sgpr_private_segment_buffer 1
		.amdhsa_user_sgpr_dispatch_ptr 0
		.amdhsa_user_sgpr_queue_ptr 0
		.amdhsa_user_sgpr_kernarg_segment_ptr 1
		.amdhsa_user_sgpr_dispatch_id 0
		.amdhsa_user_sgpr_flat_scratch_init 0
		.amdhsa_user_sgpr_private_segment_size 0
		.amdhsa_uses_dynamic_stack 0
		.amdhsa_system_sgpr_private_segment_wavefront_offset 0
		.amdhsa_system_sgpr_workgroup_id_x 1
		.amdhsa_system_sgpr_workgroup_id_y 0
		.amdhsa_system_sgpr_workgroup_id_z 0
		.amdhsa_system_sgpr_workgroup_info 0
		.amdhsa_system_vgpr_workitem_id 0
		.amdhsa_next_free_vgpr 13
		.amdhsa_next_free_sgpr 7
		.amdhsa_reserve_vcc 1
		.amdhsa_reserve_flat_scratch 0
		.amdhsa_float_round_mode_32 0
		.amdhsa_float_round_mode_16_64 0
		.amdhsa_float_denorm_mode_32 3
		.amdhsa_float_denorm_mode_16_64 3
		.amdhsa_dx10_clamp 1
		.amdhsa_ieee_mode 1
		.amdhsa_fp16_overflow 0
		.amdhsa_exception_fp_ieee_invalid_op 0
		.amdhsa_exception_fp_denorm_src 0
		.amdhsa_exception_fp_ieee_div_zero 0
		.amdhsa_exception_fp_ieee_overflow 0
		.amdhsa_exception_fp_ieee_underflow 0
		.amdhsa_exception_fp_ieee_inexact 0
		.amdhsa_exception_int_div_zero 0
	.end_amdhsa_kernel
	.section	.text._ZL15unary_op_kernelIXadL_ZL8op_expm1fEE6__halfEvPKT0_PS1_i,"axG",@progbits,_ZL15unary_op_kernelIXadL_ZL8op_expm1fEE6__halfEvPKT0_PS1_i,comdat
.Lfunc_end48:
	.size	_ZL15unary_op_kernelIXadL_ZL8op_expm1fEE6__halfEvPKT0_PS1_i, .Lfunc_end48-_ZL15unary_op_kernelIXadL_ZL8op_expm1fEE6__halfEvPKT0_PS1_i
                                        ; -- End function
	.set _ZL15unary_op_kernelIXadL_ZL8op_expm1fEE6__halfEvPKT0_PS1_i.num_vgpr, 13
	.set _ZL15unary_op_kernelIXadL_ZL8op_expm1fEE6__halfEvPKT0_PS1_i.num_agpr, 0
	.set _ZL15unary_op_kernelIXadL_ZL8op_expm1fEE6__halfEvPKT0_PS1_i.numbered_sgpr, 7
	.set _ZL15unary_op_kernelIXadL_ZL8op_expm1fEE6__halfEvPKT0_PS1_i.num_named_barrier, 0
	.set _ZL15unary_op_kernelIXadL_ZL8op_expm1fEE6__halfEvPKT0_PS1_i.private_seg_size, 0
	.set _ZL15unary_op_kernelIXadL_ZL8op_expm1fEE6__halfEvPKT0_PS1_i.uses_vcc, 1
	.set _ZL15unary_op_kernelIXadL_ZL8op_expm1fEE6__halfEvPKT0_PS1_i.uses_flat_scratch, 0
	.set _ZL15unary_op_kernelIXadL_ZL8op_expm1fEE6__halfEvPKT0_PS1_i.has_dyn_sized_stack, 0
	.set _ZL15unary_op_kernelIXadL_ZL8op_expm1fEE6__halfEvPKT0_PS1_i.has_recursion, 0
	.set _ZL15unary_op_kernelIXadL_ZL8op_expm1fEE6__halfEvPKT0_PS1_i.has_indirect_call, 0
	.section	.AMDGPU.csdata,"",@progbits
; Kernel info:
; codeLenInByte = 332
; TotalNumSgprs: 11
; NumVgprs: 13
; ScratchSize: 0
; MemoryBound: 0
; FloatMode: 240
; IeeeMode: 1
; LDSByteSize: 0 bytes/workgroup (compile time only)
; SGPRBlocks: 1
; VGPRBlocks: 3
; NumSGPRsForWavesPerEU: 11
; NumVGPRsForWavesPerEU: 13
; Occupancy: 10
; WaveLimiterHint : 0
; COMPUTE_PGM_RSRC2:SCRATCH_EN: 0
; COMPUTE_PGM_RSRC2:USER_SGPR: 6
; COMPUTE_PGM_RSRC2:TRAP_HANDLER: 0
; COMPUTE_PGM_RSRC2:TGID_X_EN: 1
; COMPUTE_PGM_RSRC2:TGID_Y_EN: 0
; COMPUTE_PGM_RSRC2:TGID_Z_EN: 0
; COMPUTE_PGM_RSRC2:TIDIG_COMP_CNT: 0
	.section	.text._ZL15unary_op_kernelIXadL_ZL8op_expm1fEEfEvPKT0_PS0_i,"axG",@progbits,_ZL15unary_op_kernelIXadL_ZL8op_expm1fEEfEvPKT0_PS0_i,comdat
	.globl	_ZL15unary_op_kernelIXadL_ZL8op_expm1fEEfEvPKT0_PS0_i ; -- Begin function _ZL15unary_op_kernelIXadL_ZL8op_expm1fEEfEvPKT0_PS0_i
	.p2align	8
	.type	_ZL15unary_op_kernelIXadL_ZL8op_expm1fEEfEvPKT0_PS0_i,@function
_ZL15unary_op_kernelIXadL_ZL8op_expm1fEEfEvPKT0_PS0_i: ; @_ZL15unary_op_kernelIXadL_ZL8op_expm1fEEfEvPKT0_PS0_i
; %bb.0:
	s_load_dword s0, s[4:5], 0x24
	s_load_dword s1, s[4:5], 0x10
	s_waitcnt lgkmcnt(0)
	s_and_b32 s0, s0, 0xffff
	s_mul_i32 s6, s6, s0
	v_add_u32_e32 v0, s6, v0
	v_cmp_gt_i32_e32 vcc, s1, v0
	s_and_saveexec_b64 s[0:1], vcc
	s_cbranch_execz .LBB49_2
; %bb.1:
	s_load_dwordx4 s[0:3], s[4:5], 0x0
	v_ashrrev_i32_e32 v1, 31, v0
	v_lshlrev_b64 v[0:1], 2, v[0:1]
	v_mov_b32_e32 v4, 0x3c0887f9
	v_mov_b32_e32 v5, 0x3d2aaa81
	s_waitcnt lgkmcnt(0)
	v_mov_b32_e32 v3, s1
	v_add_co_u32_e32 v2, vcc, s0, v0
	v_addc_co_u32_e32 v3, vcc, v3, v1, vcc
	global_load_dword v2, v[2:3], off
	v_mov_b32_e32 v3, 0x3ab69700
	v_mov_b32_e32 v6, 0x3e2aaaab
	s_mov_b32 s0, 0x43000000
	v_mov_b32_e32 v7, 0x7f000000
	s_mov_b32 s1, 0x42b17217
	;; [unrolled: 2-line block ×3, first 2 shown]
	v_mov_b32_e32 v9, s3
	s_waitcnt vmcnt(0)
	v_mul_f32_e32 v10, 0x3fb8aa3b, v2
	v_mov_b32_e32 v11, v2
	v_rndne_f32_e32 v10, v10
	v_fmac_f32_e32 v11, 0xbf317218, v10
	v_fmac_f32_e32 v11, 0x3102e308, v10
	v_cvt_i32_f32_e32 v12, v10
	v_fmac_f32_e32 v3, 0x395133b1, v11
	v_fmac_f32_e32 v4, v11, v3
	;; [unrolled: 1-line block ×4, first 2 shown]
	v_ldexp_f32 v3, 1.0, v12
	v_cmp_eq_f32_e32 vcc, s0, v10
	v_fma_f32 v4, v11, v6, 0.5
	v_cndmask_b32_e32 v3, v3, v7, vcc
	v_mul_f32_e32 v4, v11, v4
	v_add_f32_e32 v5, -1.0, v3
	v_fmac_f32_e32 v11, v11, v4
	v_fmac_f32_e32 v5, v3, v11
	v_add_f32_e32 v3, v5, v5
	v_cndmask_b32_e32 v3, v5, v3, vcc
	v_cmp_nlt_f32_e32 vcc, s1, v2
	v_cndmask_b32_e32 v3, v8, v3, vcc
	v_cmp_ngt_f32_e32 vcc, s4, v2
	v_cndmask_b32_e32 v2, -1.0, v3, vcc
	v_add_co_u32_e32 v0, vcc, s2, v0
	v_addc_co_u32_e32 v1, vcc, v9, v1, vcc
	global_store_dword v[0:1], v2, off
.LBB49_2:
	s_endpgm
	.section	.rodata,"a",@progbits
	.p2align	6, 0x0
	.amdhsa_kernel _ZL15unary_op_kernelIXadL_ZL8op_expm1fEEfEvPKT0_PS0_i
		.amdhsa_group_segment_fixed_size 0
		.amdhsa_private_segment_fixed_size 0
		.amdhsa_kernarg_size 280
		.amdhsa_user_sgpr_count 6
		.amdhsa_user_sgpr_private_segment_buffer 1
		.amdhsa_user_sgpr_dispatch_ptr 0
		.amdhsa_user_sgpr_queue_ptr 0
		.amdhsa_user_sgpr_kernarg_segment_ptr 1
		.amdhsa_user_sgpr_dispatch_id 0
		.amdhsa_user_sgpr_flat_scratch_init 0
		.amdhsa_user_sgpr_private_segment_size 0
		.amdhsa_uses_dynamic_stack 0
		.amdhsa_system_sgpr_private_segment_wavefront_offset 0
		.amdhsa_system_sgpr_workgroup_id_x 1
		.amdhsa_system_sgpr_workgroup_id_y 0
		.amdhsa_system_sgpr_workgroup_id_z 0
		.amdhsa_system_sgpr_workgroup_info 0
		.amdhsa_system_vgpr_workitem_id 0
		.amdhsa_next_free_vgpr 13
		.amdhsa_next_free_sgpr 7
		.amdhsa_reserve_vcc 1
		.amdhsa_reserve_flat_scratch 0
		.amdhsa_float_round_mode_32 0
		.amdhsa_float_round_mode_16_64 0
		.amdhsa_float_denorm_mode_32 3
		.amdhsa_float_denorm_mode_16_64 3
		.amdhsa_dx10_clamp 1
		.amdhsa_ieee_mode 1
		.amdhsa_fp16_overflow 0
		.amdhsa_exception_fp_ieee_invalid_op 0
		.amdhsa_exception_fp_denorm_src 0
		.amdhsa_exception_fp_ieee_div_zero 0
		.amdhsa_exception_fp_ieee_overflow 0
		.amdhsa_exception_fp_ieee_underflow 0
		.amdhsa_exception_fp_ieee_inexact 0
		.amdhsa_exception_int_div_zero 0
	.end_amdhsa_kernel
	.section	.text._ZL15unary_op_kernelIXadL_ZL8op_expm1fEEfEvPKT0_PS0_i,"axG",@progbits,_ZL15unary_op_kernelIXadL_ZL8op_expm1fEEfEvPKT0_PS0_i,comdat
.Lfunc_end49:
	.size	_ZL15unary_op_kernelIXadL_ZL8op_expm1fEEfEvPKT0_PS0_i, .Lfunc_end49-_ZL15unary_op_kernelIXadL_ZL8op_expm1fEEfEvPKT0_PS0_i
                                        ; -- End function
	.set _ZL15unary_op_kernelIXadL_ZL8op_expm1fEEfEvPKT0_PS0_i.num_vgpr, 13
	.set _ZL15unary_op_kernelIXadL_ZL8op_expm1fEEfEvPKT0_PS0_i.num_agpr, 0
	.set _ZL15unary_op_kernelIXadL_ZL8op_expm1fEEfEvPKT0_PS0_i.numbered_sgpr, 7
	.set _ZL15unary_op_kernelIXadL_ZL8op_expm1fEEfEvPKT0_PS0_i.num_named_barrier, 0
	.set _ZL15unary_op_kernelIXadL_ZL8op_expm1fEEfEvPKT0_PS0_i.private_seg_size, 0
	.set _ZL15unary_op_kernelIXadL_ZL8op_expm1fEEfEvPKT0_PS0_i.uses_vcc, 1
	.set _ZL15unary_op_kernelIXadL_ZL8op_expm1fEEfEvPKT0_PS0_i.uses_flat_scratch, 0
	.set _ZL15unary_op_kernelIXadL_ZL8op_expm1fEEfEvPKT0_PS0_i.has_dyn_sized_stack, 0
	.set _ZL15unary_op_kernelIXadL_ZL8op_expm1fEEfEvPKT0_PS0_i.has_recursion, 0
	.set _ZL15unary_op_kernelIXadL_ZL8op_expm1fEEfEvPKT0_PS0_i.has_indirect_call, 0
	.section	.AMDGPU.csdata,"",@progbits
; Kernel info:
; codeLenInByte = 312
; TotalNumSgprs: 11
; NumVgprs: 13
; ScratchSize: 0
; MemoryBound: 0
; FloatMode: 240
; IeeeMode: 1
; LDSByteSize: 0 bytes/workgroup (compile time only)
; SGPRBlocks: 1
; VGPRBlocks: 3
; NumSGPRsForWavesPerEU: 11
; NumVGPRsForWavesPerEU: 13
; Occupancy: 10
; WaveLimiterHint : 0
; COMPUTE_PGM_RSRC2:SCRATCH_EN: 0
; COMPUTE_PGM_RSRC2:USER_SGPR: 6
; COMPUTE_PGM_RSRC2:TRAP_HANDLER: 0
; COMPUTE_PGM_RSRC2:TGID_X_EN: 1
; COMPUTE_PGM_RSRC2:TGID_Y_EN: 0
; COMPUTE_PGM_RSRC2:TGID_Z_EN: 0
; COMPUTE_PGM_RSRC2:TIDIG_COMP_CNT: 0
	.section	.text._ZL15unary_op_kernelIXadL_ZL11op_softplusfEE6__halfEvPKT0_PS1_i,"axG",@progbits,_ZL15unary_op_kernelIXadL_ZL11op_softplusfEE6__halfEvPKT0_PS1_i,comdat
	.globl	_ZL15unary_op_kernelIXadL_ZL11op_softplusfEE6__halfEvPKT0_PS1_i ; -- Begin function _ZL15unary_op_kernelIXadL_ZL11op_softplusfEE6__halfEvPKT0_PS1_i
	.p2align	8
	.type	_ZL15unary_op_kernelIXadL_ZL11op_softplusfEE6__halfEvPKT0_PS1_i,@function
_ZL15unary_op_kernelIXadL_ZL11op_softplusfEE6__halfEvPKT0_PS1_i: ; @_ZL15unary_op_kernelIXadL_ZL11op_softplusfEE6__halfEvPKT0_PS1_i
; %bb.0:
	s_load_dword s0, s[4:5], 0x24
	s_load_dword s1, s[4:5], 0x10
	s_waitcnt lgkmcnt(0)
	s_and_b32 s0, s0, 0xffff
	s_mul_i32 s6, s6, s0
	v_add_u32_e32 v0, s6, v0
	v_cmp_gt_i32_e32 vcc, s1, v0
	s_and_saveexec_b64 s[0:1], vcc
	s_cbranch_execz .LBB50_2
; %bb.1:
	s_load_dwordx4 s[0:3], s[4:5], 0x0
	v_ashrrev_i32_e32 v1, 31, v0
	v_lshlrev_b64 v[0:1], 1, v[0:1]
	s_mov_b32 s4, 0xc2ce8ed0
	s_mov_b32 s5, 0x42b17218
	s_waitcnt lgkmcnt(0)
	v_mov_b32_e32 v3, s1
	v_add_co_u32_e32 v2, vcc, s0, v0
	v_addc_co_u32_e32 v3, vcc, v3, v1, vcc
	global_load_ushort v2, v[2:3], off
	s_mov_b32 s0, 0x3fb8aa3b
	s_mov_b32 s1, 0x32a5705f
	s_waitcnt vmcnt(0)
	v_cvt_f32_f16_e32 v3, v2
	v_mul_f32_e32 v4, 0x3fb8aa3b, v3
	v_fma_mix_f32 v5, v2, s0, -v4 op_sel_hi:[1,0,0]
	v_rndne_f32_e32 v6, v4
	v_fma_mix_f32 v5, v2, s1, v5 op_sel_hi:[1,0,0]
	v_sub_f32_e32 v4, v4, v6
	v_add_f32_e32 v4, v4, v5
	v_cvt_i32_f32_e32 v6, v6
	v_exp_f32_e32 v4, v4
	v_cmp_ngt_f32_e32 vcc, s4, v3
	v_mov_b32_e32 v5, 0x7f800000
	s_mov_b32 s1, 0x800000
	v_ldexp_f32 v4, v4, v6
	v_cndmask_b32_e32 v4, 0, v4, vcc
	v_cmp_nlt_f32_e32 vcc, s5, v3
	v_cndmask_b32_e32 v3, v5, v4, vcc
	v_add_f32_e32 v3, 1.0, v3
	v_cmp_gt_f32_e32 vcc, s1, v3
	v_cndmask_b32_e64 v4, 0, 32, vcc
	v_ldexp_f32 v3, v3, v4
	v_log_f32_e32 v3, v3
	s_mov_b32 s1, 0x3f317217
	s_mov_b32 s0, 0x7f800000
	v_mov_b32_e32 v4, 0x41b17218
	v_mul_f32_e32 v5, 0x3f317217, v3
	v_fma_f32 v5, v3, s1, -v5
	v_fmac_f32_e32 v5, 0x3377d1cf, v3
	v_cndmask_b32_e32 v4, 0, v4, vcc
	v_fmac_f32_e32 v5, 0x3f317217, v3
	v_cmp_lt_f32_e64 vcc, |v3|, s0
	v_cndmask_b32_e32 v3, v3, v5, vcc
	v_sub_f32_e32 v3, v3, v4
	v_cvt_f16_f32_e32 v3, v3
	s_movk_i32 s0, 0x4d00
	v_cmp_lt_f16_e32 vcc, s0, v2
	v_mov_b32_e32 v4, s3
	v_cndmask_b32_e32 v2, v3, v2, vcc
	v_add_co_u32_e32 v0, vcc, s2, v0
	v_addc_co_u32_e32 v1, vcc, v4, v1, vcc
	global_store_short v[0:1], v2, off
.LBB50_2:
	s_endpgm
	.section	.rodata,"a",@progbits
	.p2align	6, 0x0
	.amdhsa_kernel _ZL15unary_op_kernelIXadL_ZL11op_softplusfEE6__halfEvPKT0_PS1_i
		.amdhsa_group_segment_fixed_size 0
		.amdhsa_private_segment_fixed_size 0
		.amdhsa_kernarg_size 280
		.amdhsa_user_sgpr_count 6
		.amdhsa_user_sgpr_private_segment_buffer 1
		.amdhsa_user_sgpr_dispatch_ptr 0
		.amdhsa_user_sgpr_queue_ptr 0
		.amdhsa_user_sgpr_kernarg_segment_ptr 1
		.amdhsa_user_sgpr_dispatch_id 0
		.amdhsa_user_sgpr_flat_scratch_init 0
		.amdhsa_user_sgpr_private_segment_size 0
		.amdhsa_uses_dynamic_stack 0
		.amdhsa_system_sgpr_private_segment_wavefront_offset 0
		.amdhsa_system_sgpr_workgroup_id_x 1
		.amdhsa_system_sgpr_workgroup_id_y 0
		.amdhsa_system_sgpr_workgroup_id_z 0
		.amdhsa_system_sgpr_workgroup_info 0
		.amdhsa_system_vgpr_workitem_id 0
		.amdhsa_next_free_vgpr 7
		.amdhsa_next_free_sgpr 7
		.amdhsa_reserve_vcc 1
		.amdhsa_reserve_flat_scratch 0
		.amdhsa_float_round_mode_32 0
		.amdhsa_float_round_mode_16_64 0
		.amdhsa_float_denorm_mode_32 3
		.amdhsa_float_denorm_mode_16_64 3
		.amdhsa_dx10_clamp 1
		.amdhsa_ieee_mode 1
		.amdhsa_fp16_overflow 0
		.amdhsa_exception_fp_ieee_invalid_op 0
		.amdhsa_exception_fp_denorm_src 0
		.amdhsa_exception_fp_ieee_div_zero 0
		.amdhsa_exception_fp_ieee_overflow 0
		.amdhsa_exception_fp_ieee_underflow 0
		.amdhsa_exception_fp_ieee_inexact 0
		.amdhsa_exception_int_div_zero 0
	.end_amdhsa_kernel
	.section	.text._ZL15unary_op_kernelIXadL_ZL11op_softplusfEE6__halfEvPKT0_PS1_i,"axG",@progbits,_ZL15unary_op_kernelIXadL_ZL11op_softplusfEE6__halfEvPKT0_PS1_i,comdat
.Lfunc_end50:
	.size	_ZL15unary_op_kernelIXadL_ZL11op_softplusfEE6__halfEvPKT0_PS1_i, .Lfunc_end50-_ZL15unary_op_kernelIXadL_ZL11op_softplusfEE6__halfEvPKT0_PS1_i
                                        ; -- End function
	.set _ZL15unary_op_kernelIXadL_ZL11op_softplusfEE6__halfEvPKT0_PS1_i.num_vgpr, 7
	.set _ZL15unary_op_kernelIXadL_ZL11op_softplusfEE6__halfEvPKT0_PS1_i.num_agpr, 0
	.set _ZL15unary_op_kernelIXadL_ZL11op_softplusfEE6__halfEvPKT0_PS1_i.numbered_sgpr, 7
	.set _ZL15unary_op_kernelIXadL_ZL11op_softplusfEE6__halfEvPKT0_PS1_i.num_named_barrier, 0
	.set _ZL15unary_op_kernelIXadL_ZL11op_softplusfEE6__halfEvPKT0_PS1_i.private_seg_size, 0
	.set _ZL15unary_op_kernelIXadL_ZL11op_softplusfEE6__halfEvPKT0_PS1_i.uses_vcc, 1
	.set _ZL15unary_op_kernelIXadL_ZL11op_softplusfEE6__halfEvPKT0_PS1_i.uses_flat_scratch, 0
	.set _ZL15unary_op_kernelIXadL_ZL11op_softplusfEE6__halfEvPKT0_PS1_i.has_dyn_sized_stack, 0
	.set _ZL15unary_op_kernelIXadL_ZL11op_softplusfEE6__halfEvPKT0_PS1_i.has_recursion, 0
	.set _ZL15unary_op_kernelIXadL_ZL11op_softplusfEE6__halfEvPKT0_PS1_i.has_indirect_call, 0
	.section	.AMDGPU.csdata,"",@progbits
; Kernel info:
; codeLenInByte = 360
; TotalNumSgprs: 11
; NumVgprs: 7
; ScratchSize: 0
; MemoryBound: 0
; FloatMode: 240
; IeeeMode: 1
; LDSByteSize: 0 bytes/workgroup (compile time only)
; SGPRBlocks: 1
; VGPRBlocks: 1
; NumSGPRsForWavesPerEU: 11
; NumVGPRsForWavesPerEU: 7
; Occupancy: 10
; WaveLimiterHint : 0
; COMPUTE_PGM_RSRC2:SCRATCH_EN: 0
; COMPUTE_PGM_RSRC2:USER_SGPR: 6
; COMPUTE_PGM_RSRC2:TRAP_HANDLER: 0
; COMPUTE_PGM_RSRC2:TGID_X_EN: 1
; COMPUTE_PGM_RSRC2:TGID_Y_EN: 0
; COMPUTE_PGM_RSRC2:TGID_Z_EN: 0
; COMPUTE_PGM_RSRC2:TIDIG_COMP_CNT: 0
	.section	.text._ZL15unary_op_kernelIXadL_ZL11op_softplusfEEfEvPKT0_PS0_i,"axG",@progbits,_ZL15unary_op_kernelIXadL_ZL11op_softplusfEEfEvPKT0_PS0_i,comdat
	.globl	_ZL15unary_op_kernelIXadL_ZL11op_softplusfEEfEvPKT0_PS0_i ; -- Begin function _ZL15unary_op_kernelIXadL_ZL11op_softplusfEEfEvPKT0_PS0_i
	.p2align	8
	.type	_ZL15unary_op_kernelIXadL_ZL11op_softplusfEEfEvPKT0_PS0_i,@function
_ZL15unary_op_kernelIXadL_ZL11op_softplusfEEfEvPKT0_PS0_i: ; @_ZL15unary_op_kernelIXadL_ZL11op_softplusfEEfEvPKT0_PS0_i
; %bb.0:
	s_load_dword s0, s[4:5], 0x24
	s_load_dword s1, s[4:5], 0x10
	s_waitcnt lgkmcnt(0)
	s_and_b32 s0, s0, 0xffff
	s_mul_i32 s6, s6, s0
	v_add_u32_e32 v0, s6, v0
	v_cmp_gt_i32_e32 vcc, s1, v0
	s_and_saveexec_b64 s[0:1], vcc
	s_cbranch_execz .LBB51_2
; %bb.1:
	s_load_dwordx4 s[0:3], s[4:5], 0x0
	v_ashrrev_i32_e32 v1, 31, v0
	v_lshlrev_b64 v[0:1], 2, v[0:1]
	s_mov_b32 s4, 0xc2ce8ed0
	s_mov_b32 s5, 0x42b17218
	s_waitcnt lgkmcnt(0)
	v_mov_b32_e32 v3, s1
	v_add_co_u32_e32 v2, vcc, s0, v0
	v_addc_co_u32_e32 v3, vcc, v3, v1, vcc
	global_load_dword v2, v[2:3], off
	s_mov_b32 s1, 0x3fb8aa3b
	s_mov_b32 s7, 0x3f317217
	s_mov_b32 s6, 0x7f800000
	s_mov_b32 s0, 0x41a00000
	s_waitcnt vmcnt(0)
	v_mul_f32_e32 v3, 0x3fb8aa3b, v2
	v_fma_f32 v4, v2, s1, -v3
	v_rndne_f32_e32 v5, v3
	v_fmac_f32_e32 v4, 0x32a5705f, v2
	v_sub_f32_e32 v3, v3, v5
	v_add_f32_e32 v3, v3, v4
	v_cvt_i32_f32_e32 v5, v5
	v_exp_f32_e32 v3, v3
	v_cmp_ngt_f32_e32 vcc, s4, v2
	v_mov_b32_e32 v4, 0x7f800000
	s_mov_b32 s1, 0x800000
	v_ldexp_f32 v3, v3, v5
	v_cndmask_b32_e32 v3, 0, v3, vcc
	v_cmp_nlt_f32_e32 vcc, s5, v2
	v_cndmask_b32_e32 v3, v4, v3, vcc
	v_add_f32_e32 v3, 1.0, v3
	v_cmp_gt_f32_e32 vcc, s1, v3
	v_cndmask_b32_e64 v4, 0, 32, vcc
	v_ldexp_f32 v3, v3, v4
	v_log_f32_e32 v3, v3
	v_mov_b32_e32 v4, 0x41b17218
	v_cndmask_b32_e32 v4, 0, v4, vcc
	v_mov_b32_e32 v5, s3
	v_mul_f32_e32 v6, 0x3f317217, v3
	v_fma_f32 v6, v3, s7, -v6
	v_fmac_f32_e32 v6, 0x3377d1cf, v3
	v_fmac_f32_e32 v6, 0x3f317217, v3
	v_cmp_lt_f32_e64 vcc, |v3|, s6
	v_cndmask_b32_e32 v3, v3, v6, vcc
	v_sub_f32_e32 v3, v3, v4
	v_cmp_lt_f32_e32 vcc, s0, v2
	v_cndmask_b32_e32 v2, v3, v2, vcc
	v_add_co_u32_e32 v0, vcc, s2, v0
	v_addc_co_u32_e32 v1, vcc, v5, v1, vcc
	global_store_dword v[0:1], v2, off
.LBB51_2:
	s_endpgm
	.section	.rodata,"a",@progbits
	.p2align	6, 0x0
	.amdhsa_kernel _ZL15unary_op_kernelIXadL_ZL11op_softplusfEEfEvPKT0_PS0_i
		.amdhsa_group_segment_fixed_size 0
		.amdhsa_private_segment_fixed_size 0
		.amdhsa_kernarg_size 280
		.amdhsa_user_sgpr_count 6
		.amdhsa_user_sgpr_private_segment_buffer 1
		.amdhsa_user_sgpr_dispatch_ptr 0
		.amdhsa_user_sgpr_queue_ptr 0
		.amdhsa_user_sgpr_kernarg_segment_ptr 1
		.amdhsa_user_sgpr_dispatch_id 0
		.amdhsa_user_sgpr_flat_scratch_init 0
		.amdhsa_user_sgpr_private_segment_size 0
		.amdhsa_uses_dynamic_stack 0
		.amdhsa_system_sgpr_private_segment_wavefront_offset 0
		.amdhsa_system_sgpr_workgroup_id_x 1
		.amdhsa_system_sgpr_workgroup_id_y 0
		.amdhsa_system_sgpr_workgroup_id_z 0
		.amdhsa_system_sgpr_workgroup_info 0
		.amdhsa_system_vgpr_workitem_id 0
		.amdhsa_next_free_vgpr 7
		.amdhsa_next_free_sgpr 8
		.amdhsa_reserve_vcc 1
		.amdhsa_reserve_flat_scratch 0
		.amdhsa_float_round_mode_32 0
		.amdhsa_float_round_mode_16_64 0
		.amdhsa_float_denorm_mode_32 3
		.amdhsa_float_denorm_mode_16_64 3
		.amdhsa_dx10_clamp 1
		.amdhsa_ieee_mode 1
		.amdhsa_fp16_overflow 0
		.amdhsa_exception_fp_ieee_invalid_op 0
		.amdhsa_exception_fp_denorm_src 0
		.amdhsa_exception_fp_ieee_div_zero 0
		.amdhsa_exception_fp_ieee_overflow 0
		.amdhsa_exception_fp_ieee_underflow 0
		.amdhsa_exception_fp_ieee_inexact 0
		.amdhsa_exception_int_div_zero 0
	.end_amdhsa_kernel
	.section	.text._ZL15unary_op_kernelIXadL_ZL11op_softplusfEEfEvPKT0_PS0_i,"axG",@progbits,_ZL15unary_op_kernelIXadL_ZL11op_softplusfEEfEvPKT0_PS0_i,comdat
.Lfunc_end51:
	.size	_ZL15unary_op_kernelIXadL_ZL11op_softplusfEEfEvPKT0_PS0_i, .Lfunc_end51-_ZL15unary_op_kernelIXadL_ZL11op_softplusfEEfEvPKT0_PS0_i
                                        ; -- End function
	.set _ZL15unary_op_kernelIXadL_ZL11op_softplusfEEfEvPKT0_PS0_i.num_vgpr, 7
	.set _ZL15unary_op_kernelIXadL_ZL11op_softplusfEEfEvPKT0_PS0_i.num_agpr, 0
	.set _ZL15unary_op_kernelIXadL_ZL11op_softplusfEEfEvPKT0_PS0_i.numbered_sgpr, 8
	.set _ZL15unary_op_kernelIXadL_ZL11op_softplusfEEfEvPKT0_PS0_i.num_named_barrier, 0
	.set _ZL15unary_op_kernelIXadL_ZL11op_softplusfEEfEvPKT0_PS0_i.private_seg_size, 0
	.set _ZL15unary_op_kernelIXadL_ZL11op_softplusfEEfEvPKT0_PS0_i.uses_vcc, 1
	.set _ZL15unary_op_kernelIXadL_ZL11op_softplusfEEfEvPKT0_PS0_i.uses_flat_scratch, 0
	.set _ZL15unary_op_kernelIXadL_ZL11op_softplusfEEfEvPKT0_PS0_i.has_dyn_sized_stack, 0
	.set _ZL15unary_op_kernelIXadL_ZL11op_softplusfEEfEvPKT0_PS0_i.has_recursion, 0
	.set _ZL15unary_op_kernelIXadL_ZL11op_softplusfEEfEvPKT0_PS0_i.has_indirect_call, 0
	.section	.AMDGPU.csdata,"",@progbits
; Kernel info:
; codeLenInByte = 348
; TotalNumSgprs: 12
; NumVgprs: 7
; ScratchSize: 0
; MemoryBound: 0
; FloatMode: 240
; IeeeMode: 1
; LDSByteSize: 0 bytes/workgroup (compile time only)
; SGPRBlocks: 1
; VGPRBlocks: 1
; NumSGPRsForWavesPerEU: 12
; NumVGPRsForWavesPerEU: 7
; Occupancy: 10
; WaveLimiterHint : 0
; COMPUTE_PGM_RSRC2:SCRATCH_EN: 0
; COMPUTE_PGM_RSRC2:USER_SGPR: 6
; COMPUTE_PGM_RSRC2:TRAP_HANDLER: 0
; COMPUTE_PGM_RSRC2:TGID_X_EN: 1
; COMPUTE_PGM_RSRC2:TGID_Y_EN: 0
; COMPUTE_PGM_RSRC2:TGID_Z_EN: 0
; COMPUTE_PGM_RSRC2:TIDIG_COMP_CNT: 0
	.section	.text._ZL21unary_gated_op_kernelIXadL_ZL7op_relufEE6__halfEvPKT0_S3_PS1_llll,"axG",@progbits,_ZL21unary_gated_op_kernelIXadL_ZL7op_relufEE6__halfEvPKT0_S3_PS1_llll,comdat
	.globl	_ZL21unary_gated_op_kernelIXadL_ZL7op_relufEE6__halfEvPKT0_S3_PS1_llll ; -- Begin function _ZL21unary_gated_op_kernelIXadL_ZL7op_relufEE6__halfEvPKT0_S3_PS1_llll
	.p2align	8
	.type	_ZL21unary_gated_op_kernelIXadL_ZL7op_relufEE6__halfEvPKT0_S3_PS1_llll,@function
_ZL21unary_gated_op_kernelIXadL_ZL7op_relufEE6__halfEvPKT0_S3_PS1_llll: ; @_ZL21unary_gated_op_kernelIXadL_ZL7op_relufEE6__halfEvPKT0_S3_PS1_llll
; %bb.0:
	s_load_dword s0, s[4:5], 0x44
	v_mov_b32_e32 v2, 0
	s_load_dwordx8 s[8:15], s[4:5], 0x0
	v_mov_b32_e32 v1, v2
	v_mov_b32_e32 v3, s6
	s_waitcnt lgkmcnt(0)
	s_and_b32 s0, s0, 0xffff
	v_mad_u64_u32 v[0:1], s[0:1], s0, v3, v[0:1]
	v_cmp_gt_i64_e32 vcc, s[14:15], v[0:1]
	s_and_saveexec_b64 s[0:1], vcc
	s_cbranch_execz .LBB52_8
; %bb.1:
	s_load_dwordx8 s[16:23], s[4:5], 0x20
	s_waitcnt lgkmcnt(0)
	v_or_b32_e32 v3, s17, v1
	v_cmp_ne_u64_e32 vcc, 0, v[2:3]
                                        ; implicit-def: $vgpr2_vgpr3
	s_and_saveexec_b64 s[0:1], vcc
	s_xor_b64 s[2:3], exec, s[0:1]
	s_cbranch_execz .LBB52_3
; %bb.2:
	s_ashr_i32 s4, s17, 31
	s_add_u32 s0, s16, s4
	s_mov_b32 s5, s4
	s_addc_u32 s1, s17, s4
	s_xor_b64 s[6:7], s[0:1], s[4:5]
	v_cvt_f32_u32_e32 v2, s6
	v_cvt_f32_u32_e32 v3, s7
	s_sub_u32 s5, 0, s6
	s_subb_u32 s14, 0, s7
	v_ashrrev_i32_e32 v6, 31, v1
	v_madmk_f32 v2, v3, 0x4f800000, v2
	v_rcp_f32_e32 v2, v2
	v_mul_f32_e32 v2, 0x5f7ffffc, v2
	v_mul_f32_e32 v3, 0x2f800000, v2
	v_trunc_f32_e32 v3, v3
	v_madmk_f32 v2, v3, 0xcf800000, v2
	v_cvt_u32_f32_e32 v3, v3
	v_cvt_u32_f32_e32 v2, v2
	v_readfirstlane_b32 s15, v3
	v_readfirstlane_b32 s0, v2
	s_mul_i32 s1, s5, s15
	s_mul_hi_u32 s23, s5, s0
	s_mul_i32 s22, s14, s0
	s_add_i32 s1, s23, s1
	s_add_i32 s1, s1, s22
	s_mul_i32 s24, s5, s0
	s_mul_i32 s23, s0, s1
	s_mul_hi_u32 s25, s0, s24
	s_mul_hi_u32 s22, s0, s1
	s_add_u32 s23, s25, s23
	s_addc_u32 s22, 0, s22
	s_mul_hi_u32 s26, s15, s24
	s_mul_i32 s24, s15, s24
	s_add_u32 s23, s23, s24
	s_mul_hi_u32 s25, s15, s1
	s_addc_u32 s22, s22, s26
	s_addc_u32 s23, s25, 0
	s_mul_i32 s1, s15, s1
	s_add_u32 s1, s22, s1
	s_addc_u32 s22, 0, s23
	s_add_u32 s23, s0, s1
	s_cselect_b64 s[0:1], -1, 0
	s_cmp_lg_u64 s[0:1], 0
	s_addc_u32 s15, s15, s22
	s_mul_i32 s0, s5, s15
	s_mul_hi_u32 s1, s5, s23
	s_add_i32 s0, s1, s0
	s_mul_i32 s14, s14, s23
	s_add_i32 s0, s0, s14
	s_mul_i32 s5, s5, s23
	s_mul_hi_u32 s14, s15, s5
	s_mul_i32 s22, s15, s5
	s_mul_i32 s25, s23, s0
	s_mul_hi_u32 s5, s23, s5
	s_mul_hi_u32 s24, s23, s0
	s_add_u32 s5, s5, s25
	s_addc_u32 s24, 0, s24
	s_add_u32 s5, s5, s22
	s_mul_hi_u32 s1, s15, s0
	s_addc_u32 s5, s24, s14
	s_addc_u32 s1, s1, 0
	s_mul_i32 s0, s15, s0
	s_add_u32 s0, s5, s0
	s_addc_u32 s5, 0, s1
	s_add_u32 s14, s23, s0
	s_cselect_b64 s[0:1], -1, 0
	s_cmp_lg_u64 s[0:1], 0
	v_add_co_u32_e32 v2, vcc, v0, v6
	s_addc_u32 s5, s15, s5
	v_xor_b32_e32 v7, v2, v6
	v_mad_u64_u32 v[2:3], s[0:1], v7, s5, 0
	v_mul_hi_u32 v5, v7, s14
	v_addc_co_u32_e32 v4, vcc, v1, v6, vcc
	v_xor_b32_e32 v8, v4, v6
	v_add_co_u32_e32 v9, vcc, v5, v2
	v_addc_co_u32_e32 v10, vcc, 0, v3, vcc
	v_mad_u64_u32 v[2:3], s[0:1], v8, s14, 0
	v_mad_u64_u32 v[4:5], s[0:1], v8, s5, 0
	v_add_co_u32_e32 v2, vcc, v9, v2
	v_addc_co_u32_e32 v2, vcc, v10, v3, vcc
	v_addc_co_u32_e32 v3, vcc, 0, v5, vcc
	v_add_co_u32_e32 v4, vcc, v2, v4
	v_addc_co_u32_e32 v5, vcc, 0, v3, vcc
	v_mul_lo_u32 v9, s7, v4
	v_mul_lo_u32 v10, s6, v5
	v_mad_u64_u32 v[2:3], s[0:1], s6, v4, 0
	v_add3_u32 v3, v3, v10, v9
	v_sub_u32_e32 v9, v8, v3
	v_mov_b32_e32 v10, s7
	v_sub_co_u32_e32 v2, vcc, v7, v2
	v_subb_co_u32_e64 v7, s[0:1], v9, v10, vcc
	v_subrev_co_u32_e64 v9, s[0:1], s6, v2
	v_subbrev_co_u32_e64 v7, s[0:1], 0, v7, s[0:1]
	v_cmp_le_u32_e64 s[0:1], s7, v7
	v_cndmask_b32_e64 v10, 0, -1, s[0:1]
	v_cmp_le_u32_e64 s[0:1], s6, v9
	v_cndmask_b32_e64 v9, 0, -1, s[0:1]
	v_cmp_eq_u32_e64 s[0:1], s7, v7
	v_cndmask_b32_e64 v7, v10, v9, s[0:1]
	v_add_co_u32_e64 v9, s[0:1], 2, v4
	v_subb_co_u32_e32 v3, vcc, v8, v3, vcc
	v_addc_co_u32_e64 v10, s[0:1], 0, v5, s[0:1]
	v_cmp_le_u32_e32 vcc, s7, v3
	v_add_co_u32_e64 v11, s[0:1], 1, v4
	v_cndmask_b32_e64 v8, 0, -1, vcc
	v_cmp_le_u32_e32 vcc, s6, v2
	v_addc_co_u32_e64 v12, s[0:1], 0, v5, s[0:1]
	v_cndmask_b32_e64 v2, 0, -1, vcc
	v_cmp_eq_u32_e32 vcc, s7, v3
	v_cmp_ne_u32_e64 s[0:1], 0, v7
	v_cndmask_b32_e32 v2, v8, v2, vcc
	v_cndmask_b32_e64 v7, v12, v10, s[0:1]
	v_cmp_ne_u32_e32 vcc, 0, v2
	v_cndmask_b32_e64 v3, v11, v9, s[0:1]
	v_cndmask_b32_e32 v2, v5, v7, vcc
	v_cndmask_b32_e32 v3, v4, v3, vcc
	v_xor_b32_e32 v4, s4, v6
	v_xor_b32_e32 v5, v2, v4
	;; [unrolled: 1-line block ×3, first 2 shown]
	v_sub_co_u32_e32 v2, vcc, v2, v4
	v_subb_co_u32_e32 v3, vcc, v5, v4, vcc
.LBB52_3:
	s_andn2_saveexec_b64 s[0:1], s[2:3]
	s_cbranch_execz .LBB52_5
; %bb.4:
	v_cvt_f32_u32_e32 v2, s16
	s_sub_i32 s2, 0, s16
	v_rcp_iflag_f32_e32 v2, v2
	v_mul_f32_e32 v2, 0x4f7ffffe, v2
	v_cvt_u32_f32_e32 v2, v2
	v_mul_lo_u32 v3, s2, v2
	v_mul_hi_u32 v3, v2, v3
	v_add_u32_e32 v2, v2, v3
	v_mul_hi_u32 v2, v0, v2
	v_mul_lo_u32 v3, v2, s16
	v_add_u32_e32 v4, 1, v2
	v_sub_u32_e32 v3, v0, v3
	v_subrev_u32_e32 v5, s16, v3
	v_cmp_le_u32_e32 vcc, s16, v3
	v_cndmask_b32_e32 v3, v3, v5, vcc
	v_cndmask_b32_e32 v2, v2, v4, vcc
	v_add_u32_e32 v4, 1, v2
	v_cmp_le_u32_e32 vcc, s16, v3
	v_cndmask_b32_e32 v2, v2, v4, vcc
	v_mov_b32_e32 v3, 0
.LBB52_5:
	s_or_b64 exec, exec, s[0:1]
	v_mul_lo_u32 v6, v3, s16
	v_mul_lo_u32 v7, v2, s17
	v_mad_u64_u32 v[4:5], s[0:1], v2, s16, 0
	s_cmp_eq_u64 s[18:19], s[20:21]
	v_add3_u32 v5, v5, v7, v6
	v_sub_co_u32_e32 v8, vcc, v0, v4
	v_subb_co_u32_e32 v9, vcc, v1, v5, vcc
	v_mad_u64_u32 v[6:7], s[0:1], v2, s18, v[8:9]
	v_mul_lo_u32 v4, v2, s19
	v_mul_lo_u32 v5, v3, s18
	v_add3_u32 v7, v5, v7, v4
	v_mov_b32_e32 v4, v6
	v_mov_b32_e32 v5, v7
	s_cbranch_scc1 .LBB52_7
; %bb.6:
	v_mad_u64_u32 v[4:5], s[0:1], v2, s20, v[8:9]
	v_mul_lo_u32 v2, v2, s21
	v_mul_lo_u32 v3, v3, s20
	v_add3_u32 v5, v3, v5, v2
.LBB52_7:
	v_lshlrev_b64 v[2:3], 1, v[6:7]
	v_mov_b32_e32 v6, s9
	v_add_co_u32_e32 v2, vcc, s8, v2
	v_addc_co_u32_e32 v3, vcc, v6, v3, vcc
	global_load_ushort v6, v[2:3], off
	v_lshlrev_b64 v[2:3], 1, v[4:5]
	v_mov_b32_e32 v4, s11
	v_add_co_u32_e32 v2, vcc, s10, v2
	v_addc_co_u32_e32 v3, vcc, v4, v3, vcc
	global_load_ushort v2, v[2:3], off
	v_lshlrev_b64 v[0:1], 1, v[0:1]
	v_mov_b32_e32 v4, s13
	v_add_co_u32_e32 v0, vcc, s12, v0
	v_addc_co_u32_e32 v1, vcc, v4, v1, vcc
	s_waitcnt vmcnt(1)
	v_cvt_f32_f16_e32 v3, v6
	v_max_f32_e32 v3, 0, v3
	s_waitcnt vmcnt(0)
	v_fma_mixlo_f16 v2, v3, v2, 0 op_sel_hi:[0,1,0]
	global_store_short v[0:1], v2, off
.LBB52_8:
	s_endpgm
	.section	.rodata,"a",@progbits
	.p2align	6, 0x0
	.amdhsa_kernel _ZL21unary_gated_op_kernelIXadL_ZL7op_relufEE6__halfEvPKT0_S3_PS1_llll
		.amdhsa_group_segment_fixed_size 0
		.amdhsa_private_segment_fixed_size 0
		.amdhsa_kernarg_size 312
		.amdhsa_user_sgpr_count 6
		.amdhsa_user_sgpr_private_segment_buffer 1
		.amdhsa_user_sgpr_dispatch_ptr 0
		.amdhsa_user_sgpr_queue_ptr 0
		.amdhsa_user_sgpr_kernarg_segment_ptr 1
		.amdhsa_user_sgpr_dispatch_id 0
		.amdhsa_user_sgpr_flat_scratch_init 0
		.amdhsa_user_sgpr_private_segment_size 0
		.amdhsa_uses_dynamic_stack 0
		.amdhsa_system_sgpr_private_segment_wavefront_offset 0
		.amdhsa_system_sgpr_workgroup_id_x 1
		.amdhsa_system_sgpr_workgroup_id_y 0
		.amdhsa_system_sgpr_workgroup_id_z 0
		.amdhsa_system_sgpr_workgroup_info 0
		.amdhsa_system_vgpr_workitem_id 0
		.amdhsa_next_free_vgpr 13
		.amdhsa_next_free_sgpr 27
		.amdhsa_reserve_vcc 1
		.amdhsa_reserve_flat_scratch 0
		.amdhsa_float_round_mode_32 0
		.amdhsa_float_round_mode_16_64 0
		.amdhsa_float_denorm_mode_32 3
		.amdhsa_float_denorm_mode_16_64 3
		.amdhsa_dx10_clamp 1
		.amdhsa_ieee_mode 1
		.amdhsa_fp16_overflow 0
		.amdhsa_exception_fp_ieee_invalid_op 0
		.amdhsa_exception_fp_denorm_src 0
		.amdhsa_exception_fp_ieee_div_zero 0
		.amdhsa_exception_fp_ieee_overflow 0
		.amdhsa_exception_fp_ieee_underflow 0
		.amdhsa_exception_fp_ieee_inexact 0
		.amdhsa_exception_int_div_zero 0
	.end_amdhsa_kernel
	.section	.text._ZL21unary_gated_op_kernelIXadL_ZL7op_relufEE6__halfEvPKT0_S3_PS1_llll,"axG",@progbits,_ZL21unary_gated_op_kernelIXadL_ZL7op_relufEE6__halfEvPKT0_S3_PS1_llll,comdat
.Lfunc_end52:
	.size	_ZL21unary_gated_op_kernelIXadL_ZL7op_relufEE6__halfEvPKT0_S3_PS1_llll, .Lfunc_end52-_ZL21unary_gated_op_kernelIXadL_ZL7op_relufEE6__halfEvPKT0_S3_PS1_llll
                                        ; -- End function
	.set _ZL21unary_gated_op_kernelIXadL_ZL7op_relufEE6__halfEvPKT0_S3_PS1_llll.num_vgpr, 13
	.set _ZL21unary_gated_op_kernelIXadL_ZL7op_relufEE6__halfEvPKT0_S3_PS1_llll.num_agpr, 0
	.set _ZL21unary_gated_op_kernelIXadL_ZL7op_relufEE6__halfEvPKT0_S3_PS1_llll.numbered_sgpr, 27
	.set _ZL21unary_gated_op_kernelIXadL_ZL7op_relufEE6__halfEvPKT0_S3_PS1_llll.num_named_barrier, 0
	.set _ZL21unary_gated_op_kernelIXadL_ZL7op_relufEE6__halfEvPKT0_S3_PS1_llll.private_seg_size, 0
	.set _ZL21unary_gated_op_kernelIXadL_ZL7op_relufEE6__halfEvPKT0_S3_PS1_llll.uses_vcc, 1
	.set _ZL21unary_gated_op_kernelIXadL_ZL7op_relufEE6__halfEvPKT0_S3_PS1_llll.uses_flat_scratch, 0
	.set _ZL21unary_gated_op_kernelIXadL_ZL7op_relufEE6__halfEvPKT0_S3_PS1_llll.has_dyn_sized_stack, 0
	.set _ZL21unary_gated_op_kernelIXadL_ZL7op_relufEE6__halfEvPKT0_S3_PS1_llll.has_recursion, 0
	.set _ZL21unary_gated_op_kernelIXadL_ZL7op_relufEE6__halfEvPKT0_S3_PS1_llll.has_indirect_call, 0
	.section	.AMDGPU.csdata,"",@progbits
; Kernel info:
; codeLenInByte = 1048
; TotalNumSgprs: 31
; NumVgprs: 13
; ScratchSize: 0
; MemoryBound: 0
; FloatMode: 240
; IeeeMode: 1
; LDSByteSize: 0 bytes/workgroup (compile time only)
; SGPRBlocks: 3
; VGPRBlocks: 3
; NumSGPRsForWavesPerEU: 31
; NumVGPRsForWavesPerEU: 13
; Occupancy: 10
; WaveLimiterHint : 0
; COMPUTE_PGM_RSRC2:SCRATCH_EN: 0
; COMPUTE_PGM_RSRC2:USER_SGPR: 6
; COMPUTE_PGM_RSRC2:TRAP_HANDLER: 0
; COMPUTE_PGM_RSRC2:TGID_X_EN: 1
; COMPUTE_PGM_RSRC2:TGID_Y_EN: 0
; COMPUTE_PGM_RSRC2:TGID_Z_EN: 0
; COMPUTE_PGM_RSRC2:TIDIG_COMP_CNT: 0
	.section	.text._ZL21unary_gated_op_kernelIXadL_ZL7op_relufEEfEvPKT0_S2_PS0_llll,"axG",@progbits,_ZL21unary_gated_op_kernelIXadL_ZL7op_relufEEfEvPKT0_S2_PS0_llll,comdat
	.globl	_ZL21unary_gated_op_kernelIXadL_ZL7op_relufEEfEvPKT0_S2_PS0_llll ; -- Begin function _ZL21unary_gated_op_kernelIXadL_ZL7op_relufEEfEvPKT0_S2_PS0_llll
	.p2align	8
	.type	_ZL21unary_gated_op_kernelIXadL_ZL7op_relufEEfEvPKT0_S2_PS0_llll,@function
_ZL21unary_gated_op_kernelIXadL_ZL7op_relufEEfEvPKT0_S2_PS0_llll: ; @_ZL21unary_gated_op_kernelIXadL_ZL7op_relufEEfEvPKT0_S2_PS0_llll
; %bb.0:
	s_load_dword s0, s[4:5], 0x44
	v_mov_b32_e32 v2, 0
	s_load_dwordx8 s[8:15], s[4:5], 0x0
	v_mov_b32_e32 v1, v2
	v_mov_b32_e32 v3, s6
	s_waitcnt lgkmcnt(0)
	s_and_b32 s0, s0, 0xffff
	v_mad_u64_u32 v[0:1], s[0:1], s0, v3, v[0:1]
	v_cmp_gt_i64_e32 vcc, s[14:15], v[0:1]
	s_and_saveexec_b64 s[0:1], vcc
	s_cbranch_execz .LBB53_8
; %bb.1:
	s_load_dwordx8 s[16:23], s[4:5], 0x20
	s_waitcnt lgkmcnt(0)
	v_or_b32_e32 v3, s17, v1
	v_cmp_ne_u64_e32 vcc, 0, v[2:3]
                                        ; implicit-def: $vgpr2_vgpr3
	s_and_saveexec_b64 s[0:1], vcc
	s_xor_b64 s[2:3], exec, s[0:1]
	s_cbranch_execz .LBB53_3
; %bb.2:
	s_ashr_i32 s4, s17, 31
	s_add_u32 s0, s16, s4
	s_mov_b32 s5, s4
	s_addc_u32 s1, s17, s4
	s_xor_b64 s[6:7], s[0:1], s[4:5]
	v_cvt_f32_u32_e32 v2, s6
	v_cvt_f32_u32_e32 v3, s7
	s_sub_u32 s5, 0, s6
	s_subb_u32 s14, 0, s7
	v_ashrrev_i32_e32 v6, 31, v1
	v_madmk_f32 v2, v3, 0x4f800000, v2
	v_rcp_f32_e32 v2, v2
	v_mul_f32_e32 v2, 0x5f7ffffc, v2
	v_mul_f32_e32 v3, 0x2f800000, v2
	v_trunc_f32_e32 v3, v3
	v_madmk_f32 v2, v3, 0xcf800000, v2
	v_cvt_u32_f32_e32 v3, v3
	v_cvt_u32_f32_e32 v2, v2
	v_readfirstlane_b32 s15, v3
	v_readfirstlane_b32 s0, v2
	s_mul_i32 s1, s5, s15
	s_mul_hi_u32 s23, s5, s0
	s_mul_i32 s22, s14, s0
	s_add_i32 s1, s23, s1
	s_add_i32 s1, s1, s22
	s_mul_i32 s24, s5, s0
	s_mul_i32 s23, s0, s1
	s_mul_hi_u32 s25, s0, s24
	s_mul_hi_u32 s22, s0, s1
	s_add_u32 s23, s25, s23
	s_addc_u32 s22, 0, s22
	s_mul_hi_u32 s26, s15, s24
	s_mul_i32 s24, s15, s24
	s_add_u32 s23, s23, s24
	s_mul_hi_u32 s25, s15, s1
	s_addc_u32 s22, s22, s26
	s_addc_u32 s23, s25, 0
	s_mul_i32 s1, s15, s1
	s_add_u32 s1, s22, s1
	s_addc_u32 s22, 0, s23
	s_add_u32 s23, s0, s1
	s_cselect_b64 s[0:1], -1, 0
	s_cmp_lg_u64 s[0:1], 0
	s_addc_u32 s15, s15, s22
	s_mul_i32 s0, s5, s15
	s_mul_hi_u32 s1, s5, s23
	s_add_i32 s0, s1, s0
	s_mul_i32 s14, s14, s23
	s_add_i32 s0, s0, s14
	s_mul_i32 s5, s5, s23
	s_mul_hi_u32 s14, s15, s5
	s_mul_i32 s22, s15, s5
	s_mul_i32 s25, s23, s0
	s_mul_hi_u32 s5, s23, s5
	s_mul_hi_u32 s24, s23, s0
	s_add_u32 s5, s5, s25
	s_addc_u32 s24, 0, s24
	s_add_u32 s5, s5, s22
	s_mul_hi_u32 s1, s15, s0
	s_addc_u32 s5, s24, s14
	s_addc_u32 s1, s1, 0
	s_mul_i32 s0, s15, s0
	s_add_u32 s0, s5, s0
	s_addc_u32 s5, 0, s1
	s_add_u32 s14, s23, s0
	s_cselect_b64 s[0:1], -1, 0
	s_cmp_lg_u64 s[0:1], 0
	v_add_co_u32_e32 v2, vcc, v0, v6
	s_addc_u32 s5, s15, s5
	v_xor_b32_e32 v7, v2, v6
	v_mad_u64_u32 v[2:3], s[0:1], v7, s5, 0
	v_mul_hi_u32 v5, v7, s14
	v_addc_co_u32_e32 v4, vcc, v1, v6, vcc
	v_xor_b32_e32 v8, v4, v6
	v_add_co_u32_e32 v9, vcc, v5, v2
	v_addc_co_u32_e32 v10, vcc, 0, v3, vcc
	v_mad_u64_u32 v[2:3], s[0:1], v8, s14, 0
	v_mad_u64_u32 v[4:5], s[0:1], v8, s5, 0
	v_add_co_u32_e32 v2, vcc, v9, v2
	v_addc_co_u32_e32 v2, vcc, v10, v3, vcc
	v_addc_co_u32_e32 v3, vcc, 0, v5, vcc
	v_add_co_u32_e32 v4, vcc, v2, v4
	v_addc_co_u32_e32 v5, vcc, 0, v3, vcc
	v_mul_lo_u32 v9, s7, v4
	v_mul_lo_u32 v10, s6, v5
	v_mad_u64_u32 v[2:3], s[0:1], s6, v4, 0
	v_add3_u32 v3, v3, v10, v9
	v_sub_u32_e32 v9, v8, v3
	v_mov_b32_e32 v10, s7
	v_sub_co_u32_e32 v2, vcc, v7, v2
	v_subb_co_u32_e64 v7, s[0:1], v9, v10, vcc
	v_subrev_co_u32_e64 v9, s[0:1], s6, v2
	v_subbrev_co_u32_e64 v7, s[0:1], 0, v7, s[0:1]
	v_cmp_le_u32_e64 s[0:1], s7, v7
	v_cndmask_b32_e64 v10, 0, -1, s[0:1]
	v_cmp_le_u32_e64 s[0:1], s6, v9
	v_cndmask_b32_e64 v9, 0, -1, s[0:1]
	v_cmp_eq_u32_e64 s[0:1], s7, v7
	v_cndmask_b32_e64 v7, v10, v9, s[0:1]
	v_add_co_u32_e64 v9, s[0:1], 2, v4
	v_subb_co_u32_e32 v3, vcc, v8, v3, vcc
	v_addc_co_u32_e64 v10, s[0:1], 0, v5, s[0:1]
	v_cmp_le_u32_e32 vcc, s7, v3
	v_add_co_u32_e64 v11, s[0:1], 1, v4
	v_cndmask_b32_e64 v8, 0, -1, vcc
	v_cmp_le_u32_e32 vcc, s6, v2
	v_addc_co_u32_e64 v12, s[0:1], 0, v5, s[0:1]
	v_cndmask_b32_e64 v2, 0, -1, vcc
	v_cmp_eq_u32_e32 vcc, s7, v3
	v_cmp_ne_u32_e64 s[0:1], 0, v7
	v_cndmask_b32_e32 v2, v8, v2, vcc
	v_cndmask_b32_e64 v7, v12, v10, s[0:1]
	v_cmp_ne_u32_e32 vcc, 0, v2
	v_cndmask_b32_e64 v3, v11, v9, s[0:1]
	v_cndmask_b32_e32 v2, v5, v7, vcc
	v_cndmask_b32_e32 v3, v4, v3, vcc
	v_xor_b32_e32 v4, s4, v6
	v_xor_b32_e32 v5, v2, v4
	;; [unrolled: 1-line block ×3, first 2 shown]
	v_sub_co_u32_e32 v2, vcc, v2, v4
	v_subb_co_u32_e32 v3, vcc, v5, v4, vcc
.LBB53_3:
	s_andn2_saveexec_b64 s[0:1], s[2:3]
	s_cbranch_execz .LBB53_5
; %bb.4:
	v_cvt_f32_u32_e32 v2, s16
	s_sub_i32 s2, 0, s16
	v_rcp_iflag_f32_e32 v2, v2
	v_mul_f32_e32 v2, 0x4f7ffffe, v2
	v_cvt_u32_f32_e32 v2, v2
	v_mul_lo_u32 v3, s2, v2
	v_mul_hi_u32 v3, v2, v3
	v_add_u32_e32 v2, v2, v3
	v_mul_hi_u32 v2, v0, v2
	v_mul_lo_u32 v3, v2, s16
	v_add_u32_e32 v4, 1, v2
	v_sub_u32_e32 v3, v0, v3
	v_subrev_u32_e32 v5, s16, v3
	v_cmp_le_u32_e32 vcc, s16, v3
	v_cndmask_b32_e32 v3, v3, v5, vcc
	v_cndmask_b32_e32 v2, v2, v4, vcc
	v_add_u32_e32 v4, 1, v2
	v_cmp_le_u32_e32 vcc, s16, v3
	v_cndmask_b32_e32 v2, v2, v4, vcc
	v_mov_b32_e32 v3, 0
.LBB53_5:
	s_or_b64 exec, exec, s[0:1]
	v_mul_lo_u32 v6, v3, s16
	v_mul_lo_u32 v7, v2, s17
	v_mad_u64_u32 v[4:5], s[0:1], v2, s16, 0
	s_cmp_eq_u64 s[18:19], s[20:21]
	v_add3_u32 v5, v5, v7, v6
	v_sub_co_u32_e32 v8, vcc, v0, v4
	v_subb_co_u32_e32 v9, vcc, v1, v5, vcc
	v_mad_u64_u32 v[6:7], s[0:1], v2, s18, v[8:9]
	v_mul_lo_u32 v4, v2, s19
	v_mul_lo_u32 v5, v3, s18
	v_add3_u32 v7, v5, v7, v4
	v_mov_b32_e32 v4, v6
	v_mov_b32_e32 v5, v7
	s_cbranch_scc1 .LBB53_7
; %bb.6:
	v_mad_u64_u32 v[4:5], s[0:1], v2, s20, v[8:9]
	v_mul_lo_u32 v2, v2, s21
	v_mul_lo_u32 v3, v3, s20
	v_add3_u32 v5, v3, v5, v2
.LBB53_7:
	v_lshlrev_b64 v[2:3], 2, v[6:7]
	v_mov_b32_e32 v6, s9
	v_add_co_u32_e32 v2, vcc, s8, v2
	v_addc_co_u32_e32 v3, vcc, v6, v3, vcc
	global_load_dword v6, v[2:3], off
	v_lshlrev_b64 v[2:3], 2, v[4:5]
	v_mov_b32_e32 v4, s11
	v_add_co_u32_e32 v2, vcc, s10, v2
	v_addc_co_u32_e32 v3, vcc, v4, v3, vcc
	global_load_dword v2, v[2:3], off
	v_lshlrev_b64 v[0:1], 2, v[0:1]
	v_mov_b32_e32 v3, s13
	v_add_co_u32_e32 v0, vcc, s12, v0
	v_addc_co_u32_e32 v1, vcc, v3, v1, vcc
	s_waitcnt vmcnt(1)
	v_max_f32_e32 v4, v6, v6
	v_max_f32_e32 v4, 0, v4
	s_waitcnt vmcnt(0)
	v_mul_f32_e32 v2, v4, v2
	global_store_dword v[0:1], v2, off
.LBB53_8:
	s_endpgm
	.section	.rodata,"a",@progbits
	.p2align	6, 0x0
	.amdhsa_kernel _ZL21unary_gated_op_kernelIXadL_ZL7op_relufEEfEvPKT0_S2_PS0_llll
		.amdhsa_group_segment_fixed_size 0
		.amdhsa_private_segment_fixed_size 0
		.amdhsa_kernarg_size 312
		.amdhsa_user_sgpr_count 6
		.amdhsa_user_sgpr_private_segment_buffer 1
		.amdhsa_user_sgpr_dispatch_ptr 0
		.amdhsa_user_sgpr_queue_ptr 0
		.amdhsa_user_sgpr_kernarg_segment_ptr 1
		.amdhsa_user_sgpr_dispatch_id 0
		.amdhsa_user_sgpr_flat_scratch_init 0
		.amdhsa_user_sgpr_private_segment_size 0
		.amdhsa_uses_dynamic_stack 0
		.amdhsa_system_sgpr_private_segment_wavefront_offset 0
		.amdhsa_system_sgpr_workgroup_id_x 1
		.amdhsa_system_sgpr_workgroup_id_y 0
		.amdhsa_system_sgpr_workgroup_id_z 0
		.amdhsa_system_sgpr_workgroup_info 0
		.amdhsa_system_vgpr_workitem_id 0
		.amdhsa_next_free_vgpr 13
		.amdhsa_next_free_sgpr 27
		.amdhsa_reserve_vcc 1
		.amdhsa_reserve_flat_scratch 0
		.amdhsa_float_round_mode_32 0
		.amdhsa_float_round_mode_16_64 0
		.amdhsa_float_denorm_mode_32 3
		.amdhsa_float_denorm_mode_16_64 3
		.amdhsa_dx10_clamp 1
		.amdhsa_ieee_mode 1
		.amdhsa_fp16_overflow 0
		.amdhsa_exception_fp_ieee_invalid_op 0
		.amdhsa_exception_fp_denorm_src 0
		.amdhsa_exception_fp_ieee_div_zero 0
		.amdhsa_exception_fp_ieee_overflow 0
		.amdhsa_exception_fp_ieee_underflow 0
		.amdhsa_exception_fp_ieee_inexact 0
		.amdhsa_exception_int_div_zero 0
	.end_amdhsa_kernel
	.section	.text._ZL21unary_gated_op_kernelIXadL_ZL7op_relufEEfEvPKT0_S2_PS0_llll,"axG",@progbits,_ZL21unary_gated_op_kernelIXadL_ZL7op_relufEEfEvPKT0_S2_PS0_llll,comdat
.Lfunc_end53:
	.size	_ZL21unary_gated_op_kernelIXadL_ZL7op_relufEEfEvPKT0_S2_PS0_llll, .Lfunc_end53-_ZL21unary_gated_op_kernelIXadL_ZL7op_relufEEfEvPKT0_S2_PS0_llll
                                        ; -- End function
	.set _ZL21unary_gated_op_kernelIXadL_ZL7op_relufEEfEvPKT0_S2_PS0_llll.num_vgpr, 13
	.set _ZL21unary_gated_op_kernelIXadL_ZL7op_relufEEfEvPKT0_S2_PS0_llll.num_agpr, 0
	.set _ZL21unary_gated_op_kernelIXadL_ZL7op_relufEEfEvPKT0_S2_PS0_llll.numbered_sgpr, 27
	.set _ZL21unary_gated_op_kernelIXadL_ZL7op_relufEEfEvPKT0_S2_PS0_llll.num_named_barrier, 0
	.set _ZL21unary_gated_op_kernelIXadL_ZL7op_relufEEfEvPKT0_S2_PS0_llll.private_seg_size, 0
	.set _ZL21unary_gated_op_kernelIXadL_ZL7op_relufEEfEvPKT0_S2_PS0_llll.uses_vcc, 1
	.set _ZL21unary_gated_op_kernelIXadL_ZL7op_relufEEfEvPKT0_S2_PS0_llll.uses_flat_scratch, 0
	.set _ZL21unary_gated_op_kernelIXadL_ZL7op_relufEEfEvPKT0_S2_PS0_llll.has_dyn_sized_stack, 0
	.set _ZL21unary_gated_op_kernelIXadL_ZL7op_relufEEfEvPKT0_S2_PS0_llll.has_recursion, 0
	.set _ZL21unary_gated_op_kernelIXadL_ZL7op_relufEEfEvPKT0_S2_PS0_llll.has_indirect_call, 0
	.section	.AMDGPU.csdata,"",@progbits
; Kernel info:
; codeLenInByte = 1044
; TotalNumSgprs: 31
; NumVgprs: 13
; ScratchSize: 0
; MemoryBound: 0
; FloatMode: 240
; IeeeMode: 1
; LDSByteSize: 0 bytes/workgroup (compile time only)
; SGPRBlocks: 3
; VGPRBlocks: 3
; NumSGPRsForWavesPerEU: 31
; NumVGPRsForWavesPerEU: 13
; Occupancy: 10
; WaveLimiterHint : 0
; COMPUTE_PGM_RSRC2:SCRATCH_EN: 0
; COMPUTE_PGM_RSRC2:USER_SGPR: 6
; COMPUTE_PGM_RSRC2:TRAP_HANDLER: 0
; COMPUTE_PGM_RSRC2:TGID_X_EN: 1
; COMPUTE_PGM_RSRC2:TGID_Y_EN: 0
; COMPUTE_PGM_RSRC2:TGID_Z_EN: 0
; COMPUTE_PGM_RSRC2:TIDIG_COMP_CNT: 0
	.section	.text._ZL21unary_gated_op_kernelIXadL_ZL7op_gelufEE6__halfEvPKT0_S3_PS1_llll,"axG",@progbits,_ZL21unary_gated_op_kernelIXadL_ZL7op_gelufEE6__halfEvPKT0_S3_PS1_llll,comdat
	.globl	_ZL21unary_gated_op_kernelIXadL_ZL7op_gelufEE6__halfEvPKT0_S3_PS1_llll ; -- Begin function _ZL21unary_gated_op_kernelIXadL_ZL7op_gelufEE6__halfEvPKT0_S3_PS1_llll
	.p2align	8
	.type	_ZL21unary_gated_op_kernelIXadL_ZL7op_gelufEE6__halfEvPKT0_S3_PS1_llll,@function
_ZL21unary_gated_op_kernelIXadL_ZL7op_gelufEE6__halfEvPKT0_S3_PS1_llll: ; @_ZL21unary_gated_op_kernelIXadL_ZL7op_gelufEE6__halfEvPKT0_S3_PS1_llll
; %bb.0:
	s_load_dword s0, s[4:5], 0x44
	v_mov_b32_e32 v2, 0
	s_load_dwordx8 s[8:15], s[4:5], 0x0
	v_mov_b32_e32 v1, v2
	v_mov_b32_e32 v3, s6
	s_waitcnt lgkmcnt(0)
	s_and_b32 s0, s0, 0xffff
	v_mad_u64_u32 v[0:1], s[0:1], s0, v3, v[0:1]
	v_cmp_gt_i64_e32 vcc, s[14:15], v[0:1]
	s_and_saveexec_b64 s[0:1], vcc
	s_cbranch_execz .LBB54_12
; %bb.1:
	s_load_dwordx8 s[16:23], s[4:5], 0x20
                                        ; implicit-def: $vgpr4_vgpr5
	s_waitcnt lgkmcnt(0)
	v_or_b32_e32 v3, s17, v1
	v_cmp_ne_u64_e32 vcc, 0, v[2:3]
	s_and_saveexec_b64 s[0:1], vcc
	s_xor_b64 s[2:3], exec, s[0:1]
	s_cbranch_execz .LBB54_3
; %bb.2:
	s_ashr_i32 s4, s17, 31
	s_add_u32 s0, s16, s4
	s_mov_b32 s5, s4
	s_addc_u32 s1, s17, s4
	s_xor_b64 s[6:7], s[0:1], s[4:5]
	v_cvt_f32_u32_e32 v2, s6
	v_cvt_f32_u32_e32 v3, s7
	s_sub_u32 s5, 0, s6
	s_subb_u32 s14, 0, s7
	v_ashrrev_i32_e32 v6, 31, v1
	v_madmk_f32 v2, v3, 0x4f800000, v2
	v_rcp_f32_e32 v2, v2
	v_mul_f32_e32 v2, 0x5f7ffffc, v2
	v_mul_f32_e32 v3, 0x2f800000, v2
	v_trunc_f32_e32 v3, v3
	v_madmk_f32 v2, v3, 0xcf800000, v2
	v_cvt_u32_f32_e32 v3, v3
	v_cvt_u32_f32_e32 v2, v2
	v_readfirstlane_b32 s15, v3
	v_readfirstlane_b32 s0, v2
	s_mul_i32 s1, s5, s15
	s_mul_hi_u32 s23, s5, s0
	s_mul_i32 s22, s14, s0
	s_add_i32 s1, s23, s1
	s_add_i32 s1, s1, s22
	s_mul_i32 s24, s5, s0
	s_mul_i32 s23, s0, s1
	s_mul_hi_u32 s25, s0, s24
	s_mul_hi_u32 s22, s0, s1
	s_add_u32 s23, s25, s23
	s_addc_u32 s22, 0, s22
	s_mul_hi_u32 s26, s15, s24
	s_mul_i32 s24, s15, s24
	s_add_u32 s23, s23, s24
	s_mul_hi_u32 s25, s15, s1
	s_addc_u32 s22, s22, s26
	s_addc_u32 s23, s25, 0
	s_mul_i32 s1, s15, s1
	s_add_u32 s1, s22, s1
	s_addc_u32 s22, 0, s23
	s_add_u32 s23, s0, s1
	s_cselect_b64 s[0:1], -1, 0
	s_cmp_lg_u64 s[0:1], 0
	s_addc_u32 s15, s15, s22
	s_mul_i32 s0, s5, s15
	s_mul_hi_u32 s1, s5, s23
	s_add_i32 s0, s1, s0
	s_mul_i32 s14, s14, s23
	s_add_i32 s0, s0, s14
	s_mul_i32 s5, s5, s23
	s_mul_hi_u32 s14, s15, s5
	s_mul_i32 s22, s15, s5
	s_mul_i32 s25, s23, s0
	s_mul_hi_u32 s5, s23, s5
	s_mul_hi_u32 s24, s23, s0
	s_add_u32 s5, s5, s25
	s_addc_u32 s24, 0, s24
	s_add_u32 s5, s5, s22
	s_mul_hi_u32 s1, s15, s0
	s_addc_u32 s5, s24, s14
	s_addc_u32 s1, s1, 0
	s_mul_i32 s0, s15, s0
	s_add_u32 s0, s5, s0
	s_addc_u32 s5, 0, s1
	s_add_u32 s14, s23, s0
	s_cselect_b64 s[0:1], -1, 0
	s_cmp_lg_u64 s[0:1], 0
	v_add_co_u32_e32 v2, vcc, v0, v6
	s_addc_u32 s5, s15, s5
	v_xor_b32_e32 v7, v2, v6
	v_mad_u64_u32 v[2:3], s[0:1], v7, s5, 0
	v_mul_hi_u32 v5, v7, s14
	v_addc_co_u32_e32 v4, vcc, v1, v6, vcc
	v_xor_b32_e32 v8, v4, v6
	v_add_co_u32_e32 v9, vcc, v5, v2
	v_addc_co_u32_e32 v10, vcc, 0, v3, vcc
	v_mad_u64_u32 v[2:3], s[0:1], v8, s14, 0
	v_mad_u64_u32 v[4:5], s[0:1], v8, s5, 0
	v_add_co_u32_e32 v2, vcc, v9, v2
	v_addc_co_u32_e32 v2, vcc, v10, v3, vcc
	v_addc_co_u32_e32 v3, vcc, 0, v5, vcc
	v_add_co_u32_e32 v4, vcc, v2, v4
	v_addc_co_u32_e32 v5, vcc, 0, v3, vcc
	v_mul_lo_u32 v9, s7, v4
	v_mul_lo_u32 v10, s6, v5
	v_mad_u64_u32 v[2:3], s[0:1], s6, v4, 0
	v_add3_u32 v3, v3, v10, v9
	v_sub_u32_e32 v9, v8, v3
	v_mov_b32_e32 v10, s7
	v_sub_co_u32_e32 v2, vcc, v7, v2
	v_subb_co_u32_e64 v7, s[0:1], v9, v10, vcc
	v_subrev_co_u32_e64 v9, s[0:1], s6, v2
	v_subbrev_co_u32_e64 v7, s[0:1], 0, v7, s[0:1]
	v_cmp_le_u32_e64 s[0:1], s7, v7
	v_cndmask_b32_e64 v10, 0, -1, s[0:1]
	v_cmp_le_u32_e64 s[0:1], s6, v9
	v_cndmask_b32_e64 v9, 0, -1, s[0:1]
	v_cmp_eq_u32_e64 s[0:1], s7, v7
	v_cndmask_b32_e64 v7, v10, v9, s[0:1]
	v_add_co_u32_e64 v9, s[0:1], 2, v4
	v_subb_co_u32_e32 v3, vcc, v8, v3, vcc
	v_addc_co_u32_e64 v10, s[0:1], 0, v5, s[0:1]
	v_cmp_le_u32_e32 vcc, s7, v3
	v_add_co_u32_e64 v11, s[0:1], 1, v4
	v_cndmask_b32_e64 v8, 0, -1, vcc
	v_cmp_le_u32_e32 vcc, s6, v2
	v_addc_co_u32_e64 v12, s[0:1], 0, v5, s[0:1]
	v_cndmask_b32_e64 v2, 0, -1, vcc
	v_cmp_eq_u32_e32 vcc, s7, v3
	v_cmp_ne_u32_e64 s[0:1], 0, v7
	v_cndmask_b32_e32 v2, v8, v2, vcc
	v_cndmask_b32_e64 v7, v12, v10, s[0:1]
	v_cmp_ne_u32_e32 vcc, 0, v2
	v_cndmask_b32_e64 v3, v11, v9, s[0:1]
	v_cndmask_b32_e32 v2, v5, v7, vcc
	v_cndmask_b32_e32 v3, v4, v3, vcc
	v_xor_b32_e32 v5, s4, v6
	v_xor_b32_e32 v3, v3, v5
	;; [unrolled: 1-line block ×3, first 2 shown]
	v_sub_co_u32_e32 v4, vcc, v3, v5
	v_subb_co_u32_e32 v5, vcc, v2, v5, vcc
.LBB54_3:
	s_andn2_saveexec_b64 s[0:1], s[2:3]
	s_cbranch_execz .LBB54_5
; %bb.4:
	v_cvt_f32_u32_e32 v2, s16
	s_sub_i32 s2, 0, s16
	v_rcp_iflag_f32_e32 v2, v2
	v_mul_f32_e32 v2, 0x4f7ffffe, v2
	v_cvt_u32_f32_e32 v2, v2
	v_mul_lo_u32 v3, s2, v2
	v_mul_hi_u32 v3, v2, v3
	v_add_u32_e32 v2, v2, v3
	v_mul_hi_u32 v2, v0, v2
	v_mul_lo_u32 v3, v2, s16
	v_add_u32_e32 v4, 1, v2
	v_sub_u32_e32 v3, v0, v3
	v_subrev_u32_e32 v5, s16, v3
	v_cmp_le_u32_e32 vcc, s16, v3
	v_cndmask_b32_e32 v3, v3, v5, vcc
	v_cndmask_b32_e32 v2, v2, v4, vcc
	v_add_u32_e32 v4, 1, v2
	v_cmp_le_u32_e32 vcc, s16, v3
	v_cndmask_b32_e32 v4, v2, v4, vcc
	v_mov_b32_e32 v5, 0
.LBB54_5:
	s_or_b64 exec, exec, s[0:1]
	v_mul_lo_u32 v6, v5, s16
	v_mul_lo_u32 v7, v4, s17
	v_mad_u64_u32 v[2:3], s[0:1], v4, s16, 0
	s_cmp_eq_u64 s[18:19], s[20:21]
	v_add3_u32 v3, v3, v7, v6
	v_sub_co_u32_e32 v8, vcc, v0, v2
	v_subb_co_u32_e32 v9, vcc, v1, v3, vcc
	v_mad_u64_u32 v[6:7], s[0:1], v4, s18, v[8:9]
	v_mul_lo_u32 v2, v4, s19
	v_mul_lo_u32 v3, v5, s18
	v_add3_u32 v7, v3, v7, v2
	v_mov_b32_e32 v2, v6
	v_mov_b32_e32 v3, v7
	s_cbranch_scc1 .LBB54_7
; %bb.6:
	v_mad_u64_u32 v[2:3], s[0:1], v4, s20, v[8:9]
	v_mul_lo_u32 v4, v4, s21
	v_mul_lo_u32 v5, v5, s20
	v_add3_u32 v3, v5, v3, v4
.LBB54_7:
	v_lshlrev_b64 v[4:5], 1, v[6:7]
	v_mov_b32_e32 v6, s9
	v_add_co_u32_e32 v4, vcc, s8, v4
	v_addc_co_u32_e32 v5, vcc, v6, v5, vcc
	global_load_ushort v5, v[4:5], off
	s_mov_b32 s0, 1.0
	s_waitcnt vmcnt(0)
	v_cvt_f32_f16_e32 v4, v5
	v_mul_f32_e32 v7, 0x3d372713, v4
	v_mul_f32_e32 v6, 0x3f4c422a, v4
	v_fma_mix_f32 v5, v7, v5, s0 op_sel_hi:[0,1,0]
	v_mul_f32_e32 v5, v6, v5
	s_mov_b32 s0, 0x3f200000
	v_cmp_nlt_f32_e64 s[0:1], |v5|, s0
                                        ; implicit-def: $vgpr6
	s_and_saveexec_b64 s[2:3], s[0:1]
	s_xor_b64 s[0:1], exec, s[2:3]
	s_cbranch_execz .LBB54_9
; %bb.8:
	v_add_f32_e64 v6, |v5|, |v5|
	v_mul_f32_e32 v7, 0x3fb8aa3b, v6
	s_mov_b32 s2, 0x3fb8aa3b
	v_rndne_f32_e32 v8, v7
	v_sub_f32_e32 v9, v7, v8
	v_fma_f32 v7, v6, s2, -v7
	v_fmac_f32_e32 v7, 0x32a5705f, v6
	v_add_f32_e32 v7, v9, v7
	v_exp_f32_e32 v7, v7
	v_cvt_i32_f32_e32 v8, v8
	s_mov_b32 s2, 0xc2ce8ed0
	v_cmp_ngt_f32_e32 vcc, s2, v6
	s_mov_b32 s2, 0x42b17218
	v_ldexp_f32 v7, v7, v8
	v_cndmask_b32_e32 v7, 0, v7, vcc
	v_mov_b32_e32 v8, 0x7f800000
	v_cmp_nlt_f32_e32 vcc, s2, v6
	v_cndmask_b32_e32 v6, v8, v7, vcc
	v_add_f32_e32 v6, 1.0, v6
	v_rcp_f32_e32 v6, v6
	v_fma_f32 v6, v6, -2.0, 1.0
.LBB54_9:
	s_andn2_saveexec_b64 s[0:1], s[0:1]
	s_cbranch_execz .LBB54_11
; %bb.10:
	v_mul_f32_e32 v6, v5, v5
	v_mov_b32_e32 v7, 0x3ca908c9
	v_fmac_f32_e32 v7, 0xbbbac73d, v6
	v_mov_b32_e32 v8, 0xbd5c1c4e
	v_fmac_f32_e32 v8, v6, v7
	;; [unrolled: 2-line block ×4, first 2 shown]
	v_mul_f32_e64 v7, |v5|, v8
	v_fma_f32 v6, v6, v7, |v5|
.LBB54_11:
	s_or_b64 exec, exec, s[0:1]
	v_lshlrev_b64 v[2:3], 1, v[2:3]
	v_mov_b32_e32 v7, s11
	v_add_co_u32_e32 v2, vcc, s10, v2
	v_addc_co_u32_e32 v3, vcc, v7, v3, vcc
	global_load_ushort v2, v[2:3], off
	s_brev_b32 s0, -2
	v_lshlrev_b64 v[0:1], 1, v[0:1]
	v_bfi_b32 v5, s0, v6, v5
	v_mul_f32_e32 v3, 0.5, v4
	v_add_f32_e32 v5, 1.0, v5
	v_mov_b32_e32 v4, s13
	v_mul_f32_e32 v3, v3, v5
	v_add_co_u32_e32 v0, vcc, s12, v0
	v_addc_co_u32_e32 v1, vcc, v4, v1, vcc
	s_waitcnt vmcnt(0)
	v_fma_mixlo_f16 v2, v3, v2, 0 op_sel_hi:[0,1,0]
	global_store_short v[0:1], v2, off
.LBB54_12:
	s_endpgm
	.section	.rodata,"a",@progbits
	.p2align	6, 0x0
	.amdhsa_kernel _ZL21unary_gated_op_kernelIXadL_ZL7op_gelufEE6__halfEvPKT0_S3_PS1_llll
		.amdhsa_group_segment_fixed_size 0
		.amdhsa_private_segment_fixed_size 0
		.amdhsa_kernarg_size 312
		.amdhsa_user_sgpr_count 6
		.amdhsa_user_sgpr_private_segment_buffer 1
		.amdhsa_user_sgpr_dispatch_ptr 0
		.amdhsa_user_sgpr_queue_ptr 0
		.amdhsa_user_sgpr_kernarg_segment_ptr 1
		.amdhsa_user_sgpr_dispatch_id 0
		.amdhsa_user_sgpr_flat_scratch_init 0
		.amdhsa_user_sgpr_private_segment_size 0
		.amdhsa_uses_dynamic_stack 0
		.amdhsa_system_sgpr_private_segment_wavefront_offset 0
		.amdhsa_system_sgpr_workgroup_id_x 1
		.amdhsa_system_sgpr_workgroup_id_y 0
		.amdhsa_system_sgpr_workgroup_id_z 0
		.amdhsa_system_sgpr_workgroup_info 0
		.amdhsa_system_vgpr_workitem_id 0
		.amdhsa_next_free_vgpr 13
		.amdhsa_next_free_sgpr 27
		.amdhsa_reserve_vcc 1
		.amdhsa_reserve_flat_scratch 0
		.amdhsa_float_round_mode_32 0
		.amdhsa_float_round_mode_16_64 0
		.amdhsa_float_denorm_mode_32 3
		.amdhsa_float_denorm_mode_16_64 3
		.amdhsa_dx10_clamp 1
		.amdhsa_ieee_mode 1
		.amdhsa_fp16_overflow 0
		.amdhsa_exception_fp_ieee_invalid_op 0
		.amdhsa_exception_fp_denorm_src 0
		.amdhsa_exception_fp_ieee_div_zero 0
		.amdhsa_exception_fp_ieee_overflow 0
		.amdhsa_exception_fp_ieee_underflow 0
		.amdhsa_exception_fp_ieee_inexact 0
		.amdhsa_exception_int_div_zero 0
	.end_amdhsa_kernel
	.section	.text._ZL21unary_gated_op_kernelIXadL_ZL7op_gelufEE6__halfEvPKT0_S3_PS1_llll,"axG",@progbits,_ZL21unary_gated_op_kernelIXadL_ZL7op_gelufEE6__halfEvPKT0_S3_PS1_llll,comdat
.Lfunc_end54:
	.size	_ZL21unary_gated_op_kernelIXadL_ZL7op_gelufEE6__halfEvPKT0_S3_PS1_llll, .Lfunc_end54-_ZL21unary_gated_op_kernelIXadL_ZL7op_gelufEE6__halfEvPKT0_S3_PS1_llll
                                        ; -- End function
	.set _ZL21unary_gated_op_kernelIXadL_ZL7op_gelufEE6__halfEvPKT0_S3_PS1_llll.num_vgpr, 13
	.set _ZL21unary_gated_op_kernelIXadL_ZL7op_gelufEE6__halfEvPKT0_S3_PS1_llll.num_agpr, 0
	.set _ZL21unary_gated_op_kernelIXadL_ZL7op_gelufEE6__halfEvPKT0_S3_PS1_llll.numbered_sgpr, 27
	.set _ZL21unary_gated_op_kernelIXadL_ZL7op_gelufEE6__halfEvPKT0_S3_PS1_llll.num_named_barrier, 0
	.set _ZL21unary_gated_op_kernelIXadL_ZL7op_gelufEE6__halfEvPKT0_S3_PS1_llll.private_seg_size, 0
	.set _ZL21unary_gated_op_kernelIXadL_ZL7op_gelufEE6__halfEvPKT0_S3_PS1_llll.uses_vcc, 1
	.set _ZL21unary_gated_op_kernelIXadL_ZL7op_gelufEE6__halfEvPKT0_S3_PS1_llll.uses_flat_scratch, 0
	.set _ZL21unary_gated_op_kernelIXadL_ZL7op_gelufEE6__halfEvPKT0_S3_PS1_llll.has_dyn_sized_stack, 0
	.set _ZL21unary_gated_op_kernelIXadL_ZL7op_gelufEE6__halfEvPKT0_S3_PS1_llll.has_recursion, 0
	.set _ZL21unary_gated_op_kernelIXadL_ZL7op_gelufEE6__halfEvPKT0_S3_PS1_llll.has_indirect_call, 0
	.section	.AMDGPU.csdata,"",@progbits
; Kernel info:
; codeLenInByte = 1336
; TotalNumSgprs: 31
; NumVgprs: 13
; ScratchSize: 0
; MemoryBound: 0
; FloatMode: 240
; IeeeMode: 1
; LDSByteSize: 0 bytes/workgroup (compile time only)
; SGPRBlocks: 3
; VGPRBlocks: 3
; NumSGPRsForWavesPerEU: 31
; NumVGPRsForWavesPerEU: 13
; Occupancy: 10
; WaveLimiterHint : 0
; COMPUTE_PGM_RSRC2:SCRATCH_EN: 0
; COMPUTE_PGM_RSRC2:USER_SGPR: 6
; COMPUTE_PGM_RSRC2:TRAP_HANDLER: 0
; COMPUTE_PGM_RSRC2:TGID_X_EN: 1
; COMPUTE_PGM_RSRC2:TGID_Y_EN: 0
; COMPUTE_PGM_RSRC2:TGID_Z_EN: 0
; COMPUTE_PGM_RSRC2:TIDIG_COMP_CNT: 0
	.section	.text._ZL21unary_gated_op_kernelIXadL_ZL7op_gelufEEfEvPKT0_S2_PS0_llll,"axG",@progbits,_ZL21unary_gated_op_kernelIXadL_ZL7op_gelufEEfEvPKT0_S2_PS0_llll,comdat
	.globl	_ZL21unary_gated_op_kernelIXadL_ZL7op_gelufEEfEvPKT0_S2_PS0_llll ; -- Begin function _ZL21unary_gated_op_kernelIXadL_ZL7op_gelufEEfEvPKT0_S2_PS0_llll
	.p2align	8
	.type	_ZL21unary_gated_op_kernelIXadL_ZL7op_gelufEEfEvPKT0_S2_PS0_llll,@function
_ZL21unary_gated_op_kernelIXadL_ZL7op_gelufEEfEvPKT0_S2_PS0_llll: ; @_ZL21unary_gated_op_kernelIXadL_ZL7op_gelufEEfEvPKT0_S2_PS0_llll
; %bb.0:
	s_load_dword s0, s[4:5], 0x44
	v_mov_b32_e32 v2, 0
	s_load_dwordx8 s[8:15], s[4:5], 0x0
	v_mov_b32_e32 v1, v2
	v_mov_b32_e32 v3, s6
	s_waitcnt lgkmcnt(0)
	s_and_b32 s0, s0, 0xffff
	v_mad_u64_u32 v[0:1], s[0:1], s0, v3, v[0:1]
	v_cmp_gt_i64_e32 vcc, s[14:15], v[0:1]
	s_and_saveexec_b64 s[0:1], vcc
	s_cbranch_execz .LBB55_12
; %bb.1:
	s_load_dwordx8 s[16:23], s[4:5], 0x20
                                        ; implicit-def: $vgpr4_vgpr5
	s_waitcnt lgkmcnt(0)
	v_or_b32_e32 v3, s17, v1
	v_cmp_ne_u64_e32 vcc, 0, v[2:3]
	s_and_saveexec_b64 s[0:1], vcc
	s_xor_b64 s[2:3], exec, s[0:1]
	s_cbranch_execz .LBB55_3
; %bb.2:
	s_ashr_i32 s4, s17, 31
	s_add_u32 s0, s16, s4
	s_mov_b32 s5, s4
	s_addc_u32 s1, s17, s4
	s_xor_b64 s[6:7], s[0:1], s[4:5]
	v_cvt_f32_u32_e32 v2, s6
	v_cvt_f32_u32_e32 v3, s7
	s_sub_u32 s5, 0, s6
	s_subb_u32 s14, 0, s7
	v_ashrrev_i32_e32 v6, 31, v1
	v_madmk_f32 v2, v3, 0x4f800000, v2
	v_rcp_f32_e32 v2, v2
	v_mul_f32_e32 v2, 0x5f7ffffc, v2
	v_mul_f32_e32 v3, 0x2f800000, v2
	v_trunc_f32_e32 v3, v3
	v_madmk_f32 v2, v3, 0xcf800000, v2
	v_cvt_u32_f32_e32 v3, v3
	v_cvt_u32_f32_e32 v2, v2
	v_readfirstlane_b32 s15, v3
	v_readfirstlane_b32 s0, v2
	s_mul_i32 s1, s5, s15
	s_mul_hi_u32 s23, s5, s0
	s_mul_i32 s22, s14, s0
	s_add_i32 s1, s23, s1
	s_add_i32 s1, s1, s22
	s_mul_i32 s24, s5, s0
	s_mul_i32 s23, s0, s1
	s_mul_hi_u32 s25, s0, s24
	s_mul_hi_u32 s22, s0, s1
	s_add_u32 s23, s25, s23
	s_addc_u32 s22, 0, s22
	s_mul_hi_u32 s26, s15, s24
	s_mul_i32 s24, s15, s24
	s_add_u32 s23, s23, s24
	s_mul_hi_u32 s25, s15, s1
	s_addc_u32 s22, s22, s26
	s_addc_u32 s23, s25, 0
	s_mul_i32 s1, s15, s1
	s_add_u32 s1, s22, s1
	s_addc_u32 s22, 0, s23
	s_add_u32 s23, s0, s1
	s_cselect_b64 s[0:1], -1, 0
	s_cmp_lg_u64 s[0:1], 0
	s_addc_u32 s15, s15, s22
	s_mul_i32 s0, s5, s15
	s_mul_hi_u32 s1, s5, s23
	s_add_i32 s0, s1, s0
	s_mul_i32 s14, s14, s23
	s_add_i32 s0, s0, s14
	s_mul_i32 s5, s5, s23
	s_mul_hi_u32 s14, s15, s5
	s_mul_i32 s22, s15, s5
	s_mul_i32 s25, s23, s0
	s_mul_hi_u32 s5, s23, s5
	s_mul_hi_u32 s24, s23, s0
	s_add_u32 s5, s5, s25
	s_addc_u32 s24, 0, s24
	s_add_u32 s5, s5, s22
	s_mul_hi_u32 s1, s15, s0
	s_addc_u32 s5, s24, s14
	s_addc_u32 s1, s1, 0
	s_mul_i32 s0, s15, s0
	s_add_u32 s0, s5, s0
	s_addc_u32 s5, 0, s1
	s_add_u32 s14, s23, s0
	s_cselect_b64 s[0:1], -1, 0
	s_cmp_lg_u64 s[0:1], 0
	v_add_co_u32_e32 v2, vcc, v0, v6
	s_addc_u32 s5, s15, s5
	v_xor_b32_e32 v7, v2, v6
	v_mad_u64_u32 v[2:3], s[0:1], v7, s5, 0
	v_mul_hi_u32 v5, v7, s14
	v_addc_co_u32_e32 v4, vcc, v1, v6, vcc
	v_xor_b32_e32 v8, v4, v6
	v_add_co_u32_e32 v9, vcc, v5, v2
	v_addc_co_u32_e32 v10, vcc, 0, v3, vcc
	v_mad_u64_u32 v[2:3], s[0:1], v8, s14, 0
	v_mad_u64_u32 v[4:5], s[0:1], v8, s5, 0
	v_add_co_u32_e32 v2, vcc, v9, v2
	v_addc_co_u32_e32 v2, vcc, v10, v3, vcc
	v_addc_co_u32_e32 v3, vcc, 0, v5, vcc
	v_add_co_u32_e32 v4, vcc, v2, v4
	v_addc_co_u32_e32 v5, vcc, 0, v3, vcc
	v_mul_lo_u32 v9, s7, v4
	v_mul_lo_u32 v10, s6, v5
	v_mad_u64_u32 v[2:3], s[0:1], s6, v4, 0
	v_add3_u32 v3, v3, v10, v9
	v_sub_u32_e32 v9, v8, v3
	v_mov_b32_e32 v10, s7
	v_sub_co_u32_e32 v2, vcc, v7, v2
	v_subb_co_u32_e64 v7, s[0:1], v9, v10, vcc
	v_subrev_co_u32_e64 v9, s[0:1], s6, v2
	v_subbrev_co_u32_e64 v7, s[0:1], 0, v7, s[0:1]
	v_cmp_le_u32_e64 s[0:1], s7, v7
	v_cndmask_b32_e64 v10, 0, -1, s[0:1]
	v_cmp_le_u32_e64 s[0:1], s6, v9
	v_cndmask_b32_e64 v9, 0, -1, s[0:1]
	v_cmp_eq_u32_e64 s[0:1], s7, v7
	v_cndmask_b32_e64 v7, v10, v9, s[0:1]
	v_add_co_u32_e64 v9, s[0:1], 2, v4
	v_subb_co_u32_e32 v3, vcc, v8, v3, vcc
	v_addc_co_u32_e64 v10, s[0:1], 0, v5, s[0:1]
	v_cmp_le_u32_e32 vcc, s7, v3
	v_add_co_u32_e64 v11, s[0:1], 1, v4
	v_cndmask_b32_e64 v8, 0, -1, vcc
	v_cmp_le_u32_e32 vcc, s6, v2
	v_addc_co_u32_e64 v12, s[0:1], 0, v5, s[0:1]
	v_cndmask_b32_e64 v2, 0, -1, vcc
	v_cmp_eq_u32_e32 vcc, s7, v3
	v_cmp_ne_u32_e64 s[0:1], 0, v7
	v_cndmask_b32_e32 v2, v8, v2, vcc
	v_cndmask_b32_e64 v7, v12, v10, s[0:1]
	v_cmp_ne_u32_e32 vcc, 0, v2
	v_cndmask_b32_e64 v3, v11, v9, s[0:1]
	v_cndmask_b32_e32 v2, v5, v7, vcc
	v_cndmask_b32_e32 v3, v4, v3, vcc
	v_xor_b32_e32 v5, s4, v6
	v_xor_b32_e32 v3, v3, v5
	;; [unrolled: 1-line block ×3, first 2 shown]
	v_sub_co_u32_e32 v4, vcc, v3, v5
	v_subb_co_u32_e32 v5, vcc, v2, v5, vcc
.LBB55_3:
	s_andn2_saveexec_b64 s[0:1], s[2:3]
	s_cbranch_execz .LBB55_5
; %bb.4:
	v_cvt_f32_u32_e32 v2, s16
	s_sub_i32 s2, 0, s16
	v_rcp_iflag_f32_e32 v2, v2
	v_mul_f32_e32 v2, 0x4f7ffffe, v2
	v_cvt_u32_f32_e32 v2, v2
	v_mul_lo_u32 v3, s2, v2
	v_mul_hi_u32 v3, v2, v3
	v_add_u32_e32 v2, v2, v3
	v_mul_hi_u32 v2, v0, v2
	v_mul_lo_u32 v3, v2, s16
	v_add_u32_e32 v4, 1, v2
	v_sub_u32_e32 v3, v0, v3
	v_subrev_u32_e32 v5, s16, v3
	v_cmp_le_u32_e32 vcc, s16, v3
	v_cndmask_b32_e32 v3, v3, v5, vcc
	v_cndmask_b32_e32 v2, v2, v4, vcc
	v_add_u32_e32 v4, 1, v2
	v_cmp_le_u32_e32 vcc, s16, v3
	v_cndmask_b32_e32 v4, v2, v4, vcc
	v_mov_b32_e32 v5, 0
.LBB55_5:
	s_or_b64 exec, exec, s[0:1]
	v_mul_lo_u32 v6, v5, s16
	v_mul_lo_u32 v7, v4, s17
	v_mad_u64_u32 v[2:3], s[0:1], v4, s16, 0
	s_cmp_eq_u64 s[18:19], s[20:21]
	v_add3_u32 v3, v3, v7, v6
	v_sub_co_u32_e32 v8, vcc, v0, v2
	v_subb_co_u32_e32 v9, vcc, v1, v3, vcc
	v_mad_u64_u32 v[6:7], s[0:1], v4, s18, v[8:9]
	v_mul_lo_u32 v2, v4, s19
	v_mul_lo_u32 v3, v5, s18
	v_add3_u32 v7, v3, v7, v2
	v_mov_b32_e32 v2, v6
	v_mov_b32_e32 v3, v7
	s_cbranch_scc1 .LBB55_7
; %bb.6:
	v_mad_u64_u32 v[2:3], s[0:1], v4, s20, v[8:9]
	v_mul_lo_u32 v4, v4, s21
	v_mul_lo_u32 v5, v5, s20
	v_add3_u32 v3, v5, v3, v4
.LBB55_7:
	v_lshlrev_b64 v[4:5], 2, v[6:7]
	v_mov_b32_e32 v6, s9
	v_add_co_u32_e32 v4, vcc, s8, v4
	v_addc_co_u32_e32 v5, vcc, v6, v5, vcc
	global_load_dword v5, v[4:5], off
	s_mov_b32 s0, 0x3f200000
	s_waitcnt vmcnt(0)
	v_mul_f32_e32 v6, 0x3d372713, v5
	v_mul_f32_e32 v4, 0x3f4c422a, v5
	v_fma_f32 v6, v5, v6, 1.0
	v_mul_f32_e32 v4, v4, v6
	v_cmp_nlt_f32_e64 s[0:1], |v4|, s0
                                        ; implicit-def: $vgpr6
	s_and_saveexec_b64 s[2:3], s[0:1]
	s_xor_b64 s[0:1], exec, s[2:3]
	s_cbranch_execz .LBB55_9
; %bb.8:
	v_add_f32_e64 v6, |v4|, |v4|
	v_mul_f32_e32 v7, 0x3fb8aa3b, v6
	s_mov_b32 s2, 0x3fb8aa3b
	v_rndne_f32_e32 v8, v7
	v_sub_f32_e32 v9, v7, v8
	v_fma_f32 v7, v6, s2, -v7
	v_fmac_f32_e32 v7, 0x32a5705f, v6
	v_add_f32_e32 v7, v9, v7
	v_exp_f32_e32 v7, v7
	v_cvt_i32_f32_e32 v8, v8
	s_mov_b32 s2, 0xc2ce8ed0
	v_cmp_ngt_f32_e32 vcc, s2, v6
	s_mov_b32 s2, 0x42b17218
	v_ldexp_f32 v7, v7, v8
	v_cndmask_b32_e32 v7, 0, v7, vcc
	v_mov_b32_e32 v8, 0x7f800000
	v_cmp_nlt_f32_e32 vcc, s2, v6
	v_cndmask_b32_e32 v6, v8, v7, vcc
	v_add_f32_e32 v6, 1.0, v6
	v_rcp_f32_e32 v6, v6
	v_fma_f32 v6, v6, -2.0, 1.0
.LBB55_9:
	s_andn2_saveexec_b64 s[0:1], s[0:1]
	s_cbranch_execz .LBB55_11
; %bb.10:
	v_mul_f32_e32 v6, v4, v4
	v_mov_b32_e32 v7, 0x3ca908c9
	v_fmac_f32_e32 v7, 0xbbbac73d, v6
	v_mov_b32_e32 v8, 0xbd5c1c4e
	v_fmac_f32_e32 v8, v6, v7
	;; [unrolled: 2-line block ×4, first 2 shown]
	v_mul_f32_e64 v7, |v4|, v8
	v_fma_f32 v6, v6, v7, |v4|
.LBB55_11:
	s_or_b64 exec, exec, s[0:1]
	v_lshlrev_b64 v[2:3], 2, v[2:3]
	v_mov_b32_e32 v7, s11
	v_add_co_u32_e32 v2, vcc, s10, v2
	v_addc_co_u32_e32 v3, vcc, v7, v3, vcc
	global_load_dword v2, v[2:3], off
	s_brev_b32 s0, -2
	v_lshlrev_b64 v[0:1], 2, v[0:1]
	v_bfi_b32 v4, s0, v6, v4
	v_mul_f32_e32 v3, 0.5, v5
	v_add_f32_e32 v4, 1.0, v4
	v_mov_b32_e32 v5, s13
	v_mul_f32_e32 v3, v3, v4
	v_add_co_u32_e32 v0, vcc, s12, v0
	v_addc_co_u32_e32 v1, vcc, v5, v1, vcc
	s_waitcnt vmcnt(0)
	v_mul_f32_e32 v2, v2, v3
	global_store_dword v[0:1], v2, off
.LBB55_12:
	s_endpgm
	.section	.rodata,"a",@progbits
	.p2align	6, 0x0
	.amdhsa_kernel _ZL21unary_gated_op_kernelIXadL_ZL7op_gelufEEfEvPKT0_S2_PS0_llll
		.amdhsa_group_segment_fixed_size 0
		.amdhsa_private_segment_fixed_size 0
		.amdhsa_kernarg_size 312
		.amdhsa_user_sgpr_count 6
		.amdhsa_user_sgpr_private_segment_buffer 1
		.amdhsa_user_sgpr_dispatch_ptr 0
		.amdhsa_user_sgpr_queue_ptr 0
		.amdhsa_user_sgpr_kernarg_segment_ptr 1
		.amdhsa_user_sgpr_dispatch_id 0
		.amdhsa_user_sgpr_flat_scratch_init 0
		.amdhsa_user_sgpr_private_segment_size 0
		.amdhsa_uses_dynamic_stack 0
		.amdhsa_system_sgpr_private_segment_wavefront_offset 0
		.amdhsa_system_sgpr_workgroup_id_x 1
		.amdhsa_system_sgpr_workgroup_id_y 0
		.amdhsa_system_sgpr_workgroup_id_z 0
		.amdhsa_system_sgpr_workgroup_info 0
		.amdhsa_system_vgpr_workitem_id 0
		.amdhsa_next_free_vgpr 13
		.amdhsa_next_free_sgpr 27
		.amdhsa_reserve_vcc 1
		.amdhsa_reserve_flat_scratch 0
		.amdhsa_float_round_mode_32 0
		.amdhsa_float_round_mode_16_64 0
		.amdhsa_float_denorm_mode_32 3
		.amdhsa_float_denorm_mode_16_64 3
		.amdhsa_dx10_clamp 1
		.amdhsa_ieee_mode 1
		.amdhsa_fp16_overflow 0
		.amdhsa_exception_fp_ieee_invalid_op 0
		.amdhsa_exception_fp_denorm_src 0
		.amdhsa_exception_fp_ieee_div_zero 0
		.amdhsa_exception_fp_ieee_overflow 0
		.amdhsa_exception_fp_ieee_underflow 0
		.amdhsa_exception_fp_ieee_inexact 0
		.amdhsa_exception_int_div_zero 0
	.end_amdhsa_kernel
	.section	.text._ZL21unary_gated_op_kernelIXadL_ZL7op_gelufEEfEvPKT0_S2_PS0_llll,"axG",@progbits,_ZL21unary_gated_op_kernelIXadL_ZL7op_gelufEEfEvPKT0_S2_PS0_llll,comdat
.Lfunc_end55:
	.size	_ZL21unary_gated_op_kernelIXadL_ZL7op_gelufEEfEvPKT0_S2_PS0_llll, .Lfunc_end55-_ZL21unary_gated_op_kernelIXadL_ZL7op_gelufEEfEvPKT0_S2_PS0_llll
                                        ; -- End function
	.set _ZL21unary_gated_op_kernelIXadL_ZL7op_gelufEEfEvPKT0_S2_PS0_llll.num_vgpr, 13
	.set _ZL21unary_gated_op_kernelIXadL_ZL7op_gelufEEfEvPKT0_S2_PS0_llll.num_agpr, 0
	.set _ZL21unary_gated_op_kernelIXadL_ZL7op_gelufEEfEvPKT0_S2_PS0_llll.numbered_sgpr, 27
	.set _ZL21unary_gated_op_kernelIXadL_ZL7op_gelufEEfEvPKT0_S2_PS0_llll.num_named_barrier, 0
	.set _ZL21unary_gated_op_kernelIXadL_ZL7op_gelufEEfEvPKT0_S2_PS0_llll.private_seg_size, 0
	.set _ZL21unary_gated_op_kernelIXadL_ZL7op_gelufEEfEvPKT0_S2_PS0_llll.uses_vcc, 1
	.set _ZL21unary_gated_op_kernelIXadL_ZL7op_gelufEEfEvPKT0_S2_PS0_llll.uses_flat_scratch, 0
	.set _ZL21unary_gated_op_kernelIXadL_ZL7op_gelufEEfEvPKT0_S2_PS0_llll.has_dyn_sized_stack, 0
	.set _ZL21unary_gated_op_kernelIXadL_ZL7op_gelufEEfEvPKT0_S2_PS0_llll.has_recursion, 0
	.set _ZL21unary_gated_op_kernelIXadL_ZL7op_gelufEEfEvPKT0_S2_PS0_llll.has_indirect_call, 0
	.section	.AMDGPU.csdata,"",@progbits
; Kernel info:
; codeLenInByte = 1324
; TotalNumSgprs: 31
; NumVgprs: 13
; ScratchSize: 0
; MemoryBound: 0
; FloatMode: 240
; IeeeMode: 1
; LDSByteSize: 0 bytes/workgroup (compile time only)
; SGPRBlocks: 3
; VGPRBlocks: 3
; NumSGPRsForWavesPerEU: 31
; NumVGPRsForWavesPerEU: 13
; Occupancy: 10
; WaveLimiterHint : 0
; COMPUTE_PGM_RSRC2:SCRATCH_EN: 0
; COMPUTE_PGM_RSRC2:USER_SGPR: 6
; COMPUTE_PGM_RSRC2:TRAP_HANDLER: 0
; COMPUTE_PGM_RSRC2:TGID_X_EN: 1
; COMPUTE_PGM_RSRC2:TGID_Y_EN: 0
; COMPUTE_PGM_RSRC2:TGID_Z_EN: 0
; COMPUTE_PGM_RSRC2:TIDIG_COMP_CNT: 0
	.section	.text._ZL21unary_gated_op_kernelIXadL_ZL7op_silufEE6__halfEvPKT0_S3_PS1_llll,"axG",@progbits,_ZL21unary_gated_op_kernelIXadL_ZL7op_silufEE6__halfEvPKT0_S3_PS1_llll,comdat
	.globl	_ZL21unary_gated_op_kernelIXadL_ZL7op_silufEE6__halfEvPKT0_S3_PS1_llll ; -- Begin function _ZL21unary_gated_op_kernelIXadL_ZL7op_silufEE6__halfEvPKT0_S3_PS1_llll
	.p2align	8
	.type	_ZL21unary_gated_op_kernelIXadL_ZL7op_silufEE6__halfEvPKT0_S3_PS1_llll,@function
_ZL21unary_gated_op_kernelIXadL_ZL7op_silufEE6__halfEvPKT0_S3_PS1_llll: ; @_ZL21unary_gated_op_kernelIXadL_ZL7op_silufEE6__halfEvPKT0_S3_PS1_llll
; %bb.0:
	s_load_dword s0, s[4:5], 0x44
	v_mov_b32_e32 v2, 0
	s_load_dwordx8 s[8:15], s[4:5], 0x0
	v_mov_b32_e32 v1, v2
	v_mov_b32_e32 v3, s6
	s_waitcnt lgkmcnt(0)
	s_and_b32 s0, s0, 0xffff
	v_mad_u64_u32 v[0:1], s[0:1], s0, v3, v[0:1]
	v_cmp_gt_i64_e32 vcc, s[14:15], v[0:1]
	s_and_saveexec_b64 s[0:1], vcc
	s_cbranch_execz .LBB56_8
; %bb.1:
	s_load_dwordx8 s[16:23], s[4:5], 0x20
	s_waitcnt lgkmcnt(0)
	v_or_b32_e32 v3, s17, v1
	v_cmp_ne_u64_e32 vcc, 0, v[2:3]
                                        ; implicit-def: $vgpr2_vgpr3
	s_and_saveexec_b64 s[0:1], vcc
	s_xor_b64 s[2:3], exec, s[0:1]
	s_cbranch_execz .LBB56_3
; %bb.2:
	s_ashr_i32 s4, s17, 31
	s_add_u32 s0, s16, s4
	s_mov_b32 s5, s4
	s_addc_u32 s1, s17, s4
	s_xor_b64 s[6:7], s[0:1], s[4:5]
	v_cvt_f32_u32_e32 v2, s6
	v_cvt_f32_u32_e32 v3, s7
	s_sub_u32 s5, 0, s6
	s_subb_u32 s14, 0, s7
	v_ashrrev_i32_e32 v6, 31, v1
	v_madmk_f32 v2, v3, 0x4f800000, v2
	v_rcp_f32_e32 v2, v2
	v_mul_f32_e32 v2, 0x5f7ffffc, v2
	v_mul_f32_e32 v3, 0x2f800000, v2
	v_trunc_f32_e32 v3, v3
	v_madmk_f32 v2, v3, 0xcf800000, v2
	v_cvt_u32_f32_e32 v3, v3
	v_cvt_u32_f32_e32 v2, v2
	v_readfirstlane_b32 s15, v3
	v_readfirstlane_b32 s0, v2
	s_mul_i32 s1, s5, s15
	s_mul_hi_u32 s23, s5, s0
	s_mul_i32 s22, s14, s0
	s_add_i32 s1, s23, s1
	s_add_i32 s1, s1, s22
	s_mul_i32 s24, s5, s0
	s_mul_i32 s23, s0, s1
	s_mul_hi_u32 s25, s0, s24
	s_mul_hi_u32 s22, s0, s1
	s_add_u32 s23, s25, s23
	s_addc_u32 s22, 0, s22
	s_mul_hi_u32 s26, s15, s24
	s_mul_i32 s24, s15, s24
	s_add_u32 s23, s23, s24
	s_mul_hi_u32 s25, s15, s1
	s_addc_u32 s22, s22, s26
	s_addc_u32 s23, s25, 0
	s_mul_i32 s1, s15, s1
	s_add_u32 s1, s22, s1
	s_addc_u32 s22, 0, s23
	s_add_u32 s23, s0, s1
	s_cselect_b64 s[0:1], -1, 0
	s_cmp_lg_u64 s[0:1], 0
	s_addc_u32 s15, s15, s22
	s_mul_i32 s0, s5, s15
	s_mul_hi_u32 s1, s5, s23
	s_add_i32 s0, s1, s0
	s_mul_i32 s14, s14, s23
	s_add_i32 s0, s0, s14
	s_mul_i32 s5, s5, s23
	s_mul_hi_u32 s14, s15, s5
	s_mul_i32 s22, s15, s5
	s_mul_i32 s25, s23, s0
	s_mul_hi_u32 s5, s23, s5
	s_mul_hi_u32 s24, s23, s0
	s_add_u32 s5, s5, s25
	s_addc_u32 s24, 0, s24
	s_add_u32 s5, s5, s22
	s_mul_hi_u32 s1, s15, s0
	s_addc_u32 s5, s24, s14
	s_addc_u32 s1, s1, 0
	s_mul_i32 s0, s15, s0
	s_add_u32 s0, s5, s0
	s_addc_u32 s5, 0, s1
	s_add_u32 s14, s23, s0
	s_cselect_b64 s[0:1], -1, 0
	s_cmp_lg_u64 s[0:1], 0
	v_add_co_u32_e32 v2, vcc, v0, v6
	s_addc_u32 s5, s15, s5
	v_xor_b32_e32 v7, v2, v6
	v_mad_u64_u32 v[2:3], s[0:1], v7, s5, 0
	v_mul_hi_u32 v5, v7, s14
	v_addc_co_u32_e32 v4, vcc, v1, v6, vcc
	v_xor_b32_e32 v8, v4, v6
	v_add_co_u32_e32 v9, vcc, v5, v2
	v_addc_co_u32_e32 v10, vcc, 0, v3, vcc
	v_mad_u64_u32 v[2:3], s[0:1], v8, s14, 0
	v_mad_u64_u32 v[4:5], s[0:1], v8, s5, 0
	v_add_co_u32_e32 v2, vcc, v9, v2
	v_addc_co_u32_e32 v2, vcc, v10, v3, vcc
	v_addc_co_u32_e32 v3, vcc, 0, v5, vcc
	v_add_co_u32_e32 v4, vcc, v2, v4
	v_addc_co_u32_e32 v5, vcc, 0, v3, vcc
	v_mul_lo_u32 v9, s7, v4
	v_mul_lo_u32 v10, s6, v5
	v_mad_u64_u32 v[2:3], s[0:1], s6, v4, 0
	v_add3_u32 v3, v3, v10, v9
	v_sub_u32_e32 v9, v8, v3
	v_mov_b32_e32 v10, s7
	v_sub_co_u32_e32 v2, vcc, v7, v2
	v_subb_co_u32_e64 v7, s[0:1], v9, v10, vcc
	v_subrev_co_u32_e64 v9, s[0:1], s6, v2
	v_subbrev_co_u32_e64 v7, s[0:1], 0, v7, s[0:1]
	v_cmp_le_u32_e64 s[0:1], s7, v7
	v_cndmask_b32_e64 v10, 0, -1, s[0:1]
	v_cmp_le_u32_e64 s[0:1], s6, v9
	v_cndmask_b32_e64 v9, 0, -1, s[0:1]
	v_cmp_eq_u32_e64 s[0:1], s7, v7
	v_cndmask_b32_e64 v7, v10, v9, s[0:1]
	v_add_co_u32_e64 v9, s[0:1], 2, v4
	v_subb_co_u32_e32 v3, vcc, v8, v3, vcc
	v_addc_co_u32_e64 v10, s[0:1], 0, v5, s[0:1]
	v_cmp_le_u32_e32 vcc, s7, v3
	v_add_co_u32_e64 v11, s[0:1], 1, v4
	v_cndmask_b32_e64 v8, 0, -1, vcc
	v_cmp_le_u32_e32 vcc, s6, v2
	v_addc_co_u32_e64 v12, s[0:1], 0, v5, s[0:1]
	v_cndmask_b32_e64 v2, 0, -1, vcc
	v_cmp_eq_u32_e32 vcc, s7, v3
	v_cmp_ne_u32_e64 s[0:1], 0, v7
	v_cndmask_b32_e32 v2, v8, v2, vcc
	v_cndmask_b32_e64 v7, v12, v10, s[0:1]
	v_cmp_ne_u32_e32 vcc, 0, v2
	v_cndmask_b32_e64 v3, v11, v9, s[0:1]
	v_cndmask_b32_e32 v2, v5, v7, vcc
	v_cndmask_b32_e32 v3, v4, v3, vcc
	v_xor_b32_e32 v4, s4, v6
	v_xor_b32_e32 v5, v2, v4
	;; [unrolled: 1-line block ×3, first 2 shown]
	v_sub_co_u32_e32 v2, vcc, v2, v4
	v_subb_co_u32_e32 v3, vcc, v5, v4, vcc
.LBB56_3:
	s_andn2_saveexec_b64 s[0:1], s[2:3]
	s_cbranch_execz .LBB56_5
; %bb.4:
	v_cvt_f32_u32_e32 v2, s16
	s_sub_i32 s2, 0, s16
	v_rcp_iflag_f32_e32 v2, v2
	v_mul_f32_e32 v2, 0x4f7ffffe, v2
	v_cvt_u32_f32_e32 v2, v2
	v_mul_lo_u32 v3, s2, v2
	v_mul_hi_u32 v3, v2, v3
	v_add_u32_e32 v2, v2, v3
	v_mul_hi_u32 v2, v0, v2
	v_mul_lo_u32 v3, v2, s16
	v_add_u32_e32 v4, 1, v2
	v_sub_u32_e32 v3, v0, v3
	v_subrev_u32_e32 v5, s16, v3
	v_cmp_le_u32_e32 vcc, s16, v3
	v_cndmask_b32_e32 v3, v3, v5, vcc
	v_cndmask_b32_e32 v2, v2, v4, vcc
	v_add_u32_e32 v4, 1, v2
	v_cmp_le_u32_e32 vcc, s16, v3
	v_cndmask_b32_e32 v2, v2, v4, vcc
	v_mov_b32_e32 v3, 0
.LBB56_5:
	s_or_b64 exec, exec, s[0:1]
	v_mul_lo_u32 v6, v3, s16
	v_mul_lo_u32 v7, v2, s17
	v_mad_u64_u32 v[4:5], s[0:1], v2, s16, 0
	s_cmp_eq_u64 s[18:19], s[20:21]
	v_add3_u32 v5, v5, v7, v6
	v_sub_co_u32_e32 v8, vcc, v0, v4
	v_subb_co_u32_e32 v9, vcc, v1, v5, vcc
	v_mad_u64_u32 v[6:7], s[0:1], v2, s18, v[8:9]
	v_mul_lo_u32 v4, v2, s19
	v_mul_lo_u32 v5, v3, s18
	v_add3_u32 v7, v5, v7, v4
	v_mov_b32_e32 v4, v6
	v_mov_b32_e32 v5, v7
	s_cbranch_scc1 .LBB56_7
; %bb.6:
	v_mad_u64_u32 v[4:5], s[0:1], v2, s20, v[8:9]
	v_mul_lo_u32 v2, v2, s21
	v_mul_lo_u32 v3, v3, s20
	v_add3_u32 v5, v3, v5, v2
.LBB56_7:
	v_lshlrev_b64 v[2:3], 1, v[6:7]
	v_mov_b32_e32 v6, s9
	v_add_co_u32_e32 v2, vcc, s8, v2
	v_addc_co_u32_e32 v3, vcc, v6, v3, vcc
	global_load_ushort v6, v[2:3], off
	v_lshlrev_b64 v[2:3], 1, v[4:5]
	v_mov_b32_e32 v4, s11
	v_add_co_u32_e32 v2, vcc, s10, v2
	v_addc_co_u32_e32 v3, vcc, v4, v3, vcc
	global_load_ushort v2, v[2:3], off
	s_mov_b32 s0, 0xbfb8aa3b
	s_mov_b32 s1, 0xb2a5705f
	v_lshlrev_b64 v[0:1], 1, v[0:1]
	s_waitcnt vmcnt(1)
	v_cvt_f32_f16_e32 v3, v6
	v_mul_f32_e32 v4, 0xbfb8aa3b, v3
	v_fma_mix_f32 v5, v6, s0, -v4 op_sel_hi:[1,0,0]
	v_rndne_f32_e32 v7, v4
	v_fma_mix_f32 v5, v6, s1, v5 op_sel_hi:[1,0,0]
	v_sub_f32_e32 v4, v4, v7
	v_add_f32_e32 v4, v4, v5
	v_cvt_i32_f32_e32 v6, v7
	v_exp_f32_e32 v4, v4
	s_mov_b32 s0, 0x42ce8ed0
	s_mov_b32 s1, 0xc2b17218
	v_cmp_nlt_f32_e32 vcc, s0, v3
	v_ldexp_f32 v4, v4, v6
	v_mov_b32_e32 v5, 0x7f800000
	v_cndmask_b32_e32 v4, 0, v4, vcc
	v_cmp_ngt_f32_e32 vcc, s1, v3
	v_cndmask_b32_e32 v4, v5, v4, vcc
	v_add_f32_e32 v4, 1.0, v4
	v_div_scale_f32 v5, s[0:1], v4, v4, v3
	v_div_scale_f32 v6, vcc, v3, v4, v3
	v_rcp_f32_e32 v7, v5
	v_fma_f32 v8, -v5, v7, 1.0
	v_fmac_f32_e32 v7, v8, v7
	v_mul_f32_e32 v8, v6, v7
	v_fma_f32 v9, -v5, v8, v6
	v_fmac_f32_e32 v8, v9, v7
	v_fma_f32 v5, -v5, v8, v6
	v_div_fmas_f32 v5, v5, v7, v8
	v_mov_b32_e32 v6, s13
	v_add_co_u32_e32 v0, vcc, s12, v0
	v_addc_co_u32_e32 v1, vcc, v6, v1, vcc
	v_div_fixup_f32 v3, v5, v4, v3
	s_waitcnt vmcnt(0)
	v_fma_mixlo_f16 v2, v3, v2, 0 op_sel_hi:[0,1,0]
	global_store_short v[0:1], v2, off
.LBB56_8:
	s_endpgm
	.section	.rodata,"a",@progbits
	.p2align	6, 0x0
	.amdhsa_kernel _ZL21unary_gated_op_kernelIXadL_ZL7op_silufEE6__halfEvPKT0_S3_PS1_llll
		.amdhsa_group_segment_fixed_size 0
		.amdhsa_private_segment_fixed_size 0
		.amdhsa_kernarg_size 312
		.amdhsa_user_sgpr_count 6
		.amdhsa_user_sgpr_private_segment_buffer 1
		.amdhsa_user_sgpr_dispatch_ptr 0
		.amdhsa_user_sgpr_queue_ptr 0
		.amdhsa_user_sgpr_kernarg_segment_ptr 1
		.amdhsa_user_sgpr_dispatch_id 0
		.amdhsa_user_sgpr_flat_scratch_init 0
		.amdhsa_user_sgpr_private_segment_size 0
		.amdhsa_uses_dynamic_stack 0
		.amdhsa_system_sgpr_private_segment_wavefront_offset 0
		.amdhsa_system_sgpr_workgroup_id_x 1
		.amdhsa_system_sgpr_workgroup_id_y 0
		.amdhsa_system_sgpr_workgroup_id_z 0
		.amdhsa_system_sgpr_workgroup_info 0
		.amdhsa_system_vgpr_workitem_id 0
		.amdhsa_next_free_vgpr 13
		.amdhsa_next_free_sgpr 27
		.amdhsa_reserve_vcc 1
		.amdhsa_reserve_flat_scratch 0
		.amdhsa_float_round_mode_32 0
		.amdhsa_float_round_mode_16_64 0
		.amdhsa_float_denorm_mode_32 3
		.amdhsa_float_denorm_mode_16_64 3
		.amdhsa_dx10_clamp 1
		.amdhsa_ieee_mode 1
		.amdhsa_fp16_overflow 0
		.amdhsa_exception_fp_ieee_invalid_op 0
		.amdhsa_exception_fp_denorm_src 0
		.amdhsa_exception_fp_ieee_div_zero 0
		.amdhsa_exception_fp_ieee_overflow 0
		.amdhsa_exception_fp_ieee_underflow 0
		.amdhsa_exception_fp_ieee_inexact 0
		.amdhsa_exception_int_div_zero 0
	.end_amdhsa_kernel
	.section	.text._ZL21unary_gated_op_kernelIXadL_ZL7op_silufEE6__halfEvPKT0_S3_PS1_llll,"axG",@progbits,_ZL21unary_gated_op_kernelIXadL_ZL7op_silufEE6__halfEvPKT0_S3_PS1_llll,comdat
.Lfunc_end56:
	.size	_ZL21unary_gated_op_kernelIXadL_ZL7op_silufEE6__halfEvPKT0_S3_PS1_llll, .Lfunc_end56-_ZL21unary_gated_op_kernelIXadL_ZL7op_silufEE6__halfEvPKT0_S3_PS1_llll
                                        ; -- End function
	.set _ZL21unary_gated_op_kernelIXadL_ZL7op_silufEE6__halfEvPKT0_S3_PS1_llll.num_vgpr, 13
	.set _ZL21unary_gated_op_kernelIXadL_ZL7op_silufEE6__halfEvPKT0_S3_PS1_llll.num_agpr, 0
	.set _ZL21unary_gated_op_kernelIXadL_ZL7op_silufEE6__halfEvPKT0_S3_PS1_llll.numbered_sgpr, 27
	.set _ZL21unary_gated_op_kernelIXadL_ZL7op_silufEE6__halfEvPKT0_S3_PS1_llll.num_named_barrier, 0
	.set _ZL21unary_gated_op_kernelIXadL_ZL7op_silufEE6__halfEvPKT0_S3_PS1_llll.private_seg_size, 0
	.set _ZL21unary_gated_op_kernelIXadL_ZL7op_silufEE6__halfEvPKT0_S3_PS1_llll.uses_vcc, 1
	.set _ZL21unary_gated_op_kernelIXadL_ZL7op_silufEE6__halfEvPKT0_S3_PS1_llll.uses_flat_scratch, 0
	.set _ZL21unary_gated_op_kernelIXadL_ZL7op_silufEE6__halfEvPKT0_S3_PS1_llll.has_dyn_sized_stack, 0
	.set _ZL21unary_gated_op_kernelIXadL_ZL7op_silufEE6__halfEvPKT0_S3_PS1_llll.has_recursion, 0
	.set _ZL21unary_gated_op_kernelIXadL_ZL7op_silufEE6__halfEvPKT0_S3_PS1_llll.has_indirect_call, 0
	.section	.AMDGPU.csdata,"",@progbits
; Kernel info:
; codeLenInByte = 1228
; TotalNumSgprs: 31
; NumVgprs: 13
; ScratchSize: 0
; MemoryBound: 0
; FloatMode: 240
; IeeeMode: 1
; LDSByteSize: 0 bytes/workgroup (compile time only)
; SGPRBlocks: 3
; VGPRBlocks: 3
; NumSGPRsForWavesPerEU: 31
; NumVGPRsForWavesPerEU: 13
; Occupancy: 10
; WaveLimiterHint : 0
; COMPUTE_PGM_RSRC2:SCRATCH_EN: 0
; COMPUTE_PGM_RSRC2:USER_SGPR: 6
; COMPUTE_PGM_RSRC2:TRAP_HANDLER: 0
; COMPUTE_PGM_RSRC2:TGID_X_EN: 1
; COMPUTE_PGM_RSRC2:TGID_Y_EN: 0
; COMPUTE_PGM_RSRC2:TGID_Z_EN: 0
; COMPUTE_PGM_RSRC2:TIDIG_COMP_CNT: 0
	.section	.text._ZL21unary_gated_op_kernelIXadL_ZL7op_silufEEfEvPKT0_S2_PS0_llll,"axG",@progbits,_ZL21unary_gated_op_kernelIXadL_ZL7op_silufEEfEvPKT0_S2_PS0_llll,comdat
	.globl	_ZL21unary_gated_op_kernelIXadL_ZL7op_silufEEfEvPKT0_S2_PS0_llll ; -- Begin function _ZL21unary_gated_op_kernelIXadL_ZL7op_silufEEfEvPKT0_S2_PS0_llll
	.p2align	8
	.type	_ZL21unary_gated_op_kernelIXadL_ZL7op_silufEEfEvPKT0_S2_PS0_llll,@function
_ZL21unary_gated_op_kernelIXadL_ZL7op_silufEEfEvPKT0_S2_PS0_llll: ; @_ZL21unary_gated_op_kernelIXadL_ZL7op_silufEEfEvPKT0_S2_PS0_llll
; %bb.0:
	s_load_dword s0, s[4:5], 0x44
	v_mov_b32_e32 v2, 0
	s_load_dwordx8 s[8:15], s[4:5], 0x0
	v_mov_b32_e32 v1, v2
	v_mov_b32_e32 v3, s6
	s_waitcnt lgkmcnt(0)
	s_and_b32 s0, s0, 0xffff
	v_mad_u64_u32 v[0:1], s[0:1], s0, v3, v[0:1]
	v_cmp_gt_i64_e32 vcc, s[14:15], v[0:1]
	s_and_saveexec_b64 s[0:1], vcc
	s_cbranch_execz .LBB57_8
; %bb.1:
	s_load_dwordx8 s[16:23], s[4:5], 0x20
	s_waitcnt lgkmcnt(0)
	v_or_b32_e32 v3, s17, v1
	v_cmp_ne_u64_e32 vcc, 0, v[2:3]
                                        ; implicit-def: $vgpr2_vgpr3
	s_and_saveexec_b64 s[0:1], vcc
	s_xor_b64 s[2:3], exec, s[0:1]
	s_cbranch_execz .LBB57_3
; %bb.2:
	s_ashr_i32 s4, s17, 31
	s_add_u32 s0, s16, s4
	s_mov_b32 s5, s4
	s_addc_u32 s1, s17, s4
	s_xor_b64 s[6:7], s[0:1], s[4:5]
	v_cvt_f32_u32_e32 v2, s6
	v_cvt_f32_u32_e32 v3, s7
	s_sub_u32 s5, 0, s6
	s_subb_u32 s14, 0, s7
	v_ashrrev_i32_e32 v6, 31, v1
	v_madmk_f32 v2, v3, 0x4f800000, v2
	v_rcp_f32_e32 v2, v2
	v_mul_f32_e32 v2, 0x5f7ffffc, v2
	v_mul_f32_e32 v3, 0x2f800000, v2
	v_trunc_f32_e32 v3, v3
	v_madmk_f32 v2, v3, 0xcf800000, v2
	v_cvt_u32_f32_e32 v3, v3
	v_cvt_u32_f32_e32 v2, v2
	v_readfirstlane_b32 s15, v3
	v_readfirstlane_b32 s0, v2
	s_mul_i32 s1, s5, s15
	s_mul_hi_u32 s23, s5, s0
	s_mul_i32 s22, s14, s0
	s_add_i32 s1, s23, s1
	s_add_i32 s1, s1, s22
	s_mul_i32 s24, s5, s0
	s_mul_i32 s23, s0, s1
	s_mul_hi_u32 s25, s0, s24
	s_mul_hi_u32 s22, s0, s1
	s_add_u32 s23, s25, s23
	s_addc_u32 s22, 0, s22
	s_mul_hi_u32 s26, s15, s24
	s_mul_i32 s24, s15, s24
	s_add_u32 s23, s23, s24
	s_mul_hi_u32 s25, s15, s1
	s_addc_u32 s22, s22, s26
	s_addc_u32 s23, s25, 0
	s_mul_i32 s1, s15, s1
	s_add_u32 s1, s22, s1
	s_addc_u32 s22, 0, s23
	s_add_u32 s23, s0, s1
	s_cselect_b64 s[0:1], -1, 0
	s_cmp_lg_u64 s[0:1], 0
	s_addc_u32 s15, s15, s22
	s_mul_i32 s0, s5, s15
	s_mul_hi_u32 s1, s5, s23
	s_add_i32 s0, s1, s0
	s_mul_i32 s14, s14, s23
	s_add_i32 s0, s0, s14
	s_mul_i32 s5, s5, s23
	s_mul_hi_u32 s14, s15, s5
	s_mul_i32 s22, s15, s5
	s_mul_i32 s25, s23, s0
	s_mul_hi_u32 s5, s23, s5
	s_mul_hi_u32 s24, s23, s0
	s_add_u32 s5, s5, s25
	s_addc_u32 s24, 0, s24
	s_add_u32 s5, s5, s22
	s_mul_hi_u32 s1, s15, s0
	s_addc_u32 s5, s24, s14
	s_addc_u32 s1, s1, 0
	s_mul_i32 s0, s15, s0
	s_add_u32 s0, s5, s0
	s_addc_u32 s5, 0, s1
	s_add_u32 s14, s23, s0
	s_cselect_b64 s[0:1], -1, 0
	s_cmp_lg_u64 s[0:1], 0
	v_add_co_u32_e32 v2, vcc, v0, v6
	s_addc_u32 s5, s15, s5
	v_xor_b32_e32 v7, v2, v6
	v_mad_u64_u32 v[2:3], s[0:1], v7, s5, 0
	v_mul_hi_u32 v5, v7, s14
	v_addc_co_u32_e32 v4, vcc, v1, v6, vcc
	v_xor_b32_e32 v8, v4, v6
	v_add_co_u32_e32 v9, vcc, v5, v2
	v_addc_co_u32_e32 v10, vcc, 0, v3, vcc
	v_mad_u64_u32 v[2:3], s[0:1], v8, s14, 0
	v_mad_u64_u32 v[4:5], s[0:1], v8, s5, 0
	v_add_co_u32_e32 v2, vcc, v9, v2
	v_addc_co_u32_e32 v2, vcc, v10, v3, vcc
	v_addc_co_u32_e32 v3, vcc, 0, v5, vcc
	v_add_co_u32_e32 v4, vcc, v2, v4
	v_addc_co_u32_e32 v5, vcc, 0, v3, vcc
	v_mul_lo_u32 v9, s7, v4
	v_mul_lo_u32 v10, s6, v5
	v_mad_u64_u32 v[2:3], s[0:1], s6, v4, 0
	v_add3_u32 v3, v3, v10, v9
	v_sub_u32_e32 v9, v8, v3
	v_mov_b32_e32 v10, s7
	v_sub_co_u32_e32 v2, vcc, v7, v2
	v_subb_co_u32_e64 v7, s[0:1], v9, v10, vcc
	v_subrev_co_u32_e64 v9, s[0:1], s6, v2
	v_subbrev_co_u32_e64 v7, s[0:1], 0, v7, s[0:1]
	v_cmp_le_u32_e64 s[0:1], s7, v7
	v_cndmask_b32_e64 v10, 0, -1, s[0:1]
	v_cmp_le_u32_e64 s[0:1], s6, v9
	v_cndmask_b32_e64 v9, 0, -1, s[0:1]
	v_cmp_eq_u32_e64 s[0:1], s7, v7
	v_cndmask_b32_e64 v7, v10, v9, s[0:1]
	v_add_co_u32_e64 v9, s[0:1], 2, v4
	v_subb_co_u32_e32 v3, vcc, v8, v3, vcc
	v_addc_co_u32_e64 v10, s[0:1], 0, v5, s[0:1]
	v_cmp_le_u32_e32 vcc, s7, v3
	v_add_co_u32_e64 v11, s[0:1], 1, v4
	v_cndmask_b32_e64 v8, 0, -1, vcc
	v_cmp_le_u32_e32 vcc, s6, v2
	v_addc_co_u32_e64 v12, s[0:1], 0, v5, s[0:1]
	v_cndmask_b32_e64 v2, 0, -1, vcc
	v_cmp_eq_u32_e32 vcc, s7, v3
	v_cmp_ne_u32_e64 s[0:1], 0, v7
	v_cndmask_b32_e32 v2, v8, v2, vcc
	v_cndmask_b32_e64 v7, v12, v10, s[0:1]
	v_cmp_ne_u32_e32 vcc, 0, v2
	v_cndmask_b32_e64 v3, v11, v9, s[0:1]
	v_cndmask_b32_e32 v2, v5, v7, vcc
	v_cndmask_b32_e32 v3, v4, v3, vcc
	v_xor_b32_e32 v4, s4, v6
	v_xor_b32_e32 v5, v2, v4
	;; [unrolled: 1-line block ×3, first 2 shown]
	v_sub_co_u32_e32 v2, vcc, v2, v4
	v_subb_co_u32_e32 v3, vcc, v5, v4, vcc
.LBB57_3:
	s_andn2_saveexec_b64 s[0:1], s[2:3]
	s_cbranch_execz .LBB57_5
; %bb.4:
	v_cvt_f32_u32_e32 v2, s16
	s_sub_i32 s2, 0, s16
	v_rcp_iflag_f32_e32 v2, v2
	v_mul_f32_e32 v2, 0x4f7ffffe, v2
	v_cvt_u32_f32_e32 v2, v2
	v_mul_lo_u32 v3, s2, v2
	v_mul_hi_u32 v3, v2, v3
	v_add_u32_e32 v2, v2, v3
	v_mul_hi_u32 v2, v0, v2
	v_mul_lo_u32 v3, v2, s16
	v_add_u32_e32 v4, 1, v2
	v_sub_u32_e32 v3, v0, v3
	v_subrev_u32_e32 v5, s16, v3
	v_cmp_le_u32_e32 vcc, s16, v3
	v_cndmask_b32_e32 v3, v3, v5, vcc
	v_cndmask_b32_e32 v2, v2, v4, vcc
	v_add_u32_e32 v4, 1, v2
	v_cmp_le_u32_e32 vcc, s16, v3
	v_cndmask_b32_e32 v2, v2, v4, vcc
	v_mov_b32_e32 v3, 0
.LBB57_5:
	s_or_b64 exec, exec, s[0:1]
	v_mul_lo_u32 v6, v3, s16
	v_mul_lo_u32 v7, v2, s17
	v_mad_u64_u32 v[4:5], s[0:1], v2, s16, 0
	s_cmp_eq_u64 s[18:19], s[20:21]
	v_add3_u32 v5, v5, v7, v6
	v_sub_co_u32_e32 v8, vcc, v0, v4
	v_subb_co_u32_e32 v9, vcc, v1, v5, vcc
	v_mad_u64_u32 v[6:7], s[0:1], v2, s18, v[8:9]
	v_mul_lo_u32 v4, v2, s19
	v_mul_lo_u32 v5, v3, s18
	v_add3_u32 v7, v5, v7, v4
	v_mov_b32_e32 v4, v6
	v_mov_b32_e32 v5, v7
	s_cbranch_scc1 .LBB57_7
; %bb.6:
	v_mad_u64_u32 v[4:5], s[0:1], v2, s20, v[8:9]
	v_mul_lo_u32 v2, v2, s21
	v_mul_lo_u32 v3, v3, s20
	v_add3_u32 v5, v3, v5, v2
.LBB57_7:
	v_lshlrev_b64 v[2:3], 2, v[6:7]
	v_mov_b32_e32 v6, s9
	v_add_co_u32_e32 v2, vcc, s8, v2
	v_addc_co_u32_e32 v3, vcc, v6, v3, vcc
	global_load_dword v6, v[2:3], off
	v_lshlrev_b64 v[2:3], 2, v[4:5]
	v_mov_b32_e32 v4, s11
	v_add_co_u32_e32 v2, vcc, s10, v2
	v_addc_co_u32_e32 v3, vcc, v4, v3, vcc
	global_load_dword v2, v[2:3], off
	s_mov_b32 s0, 0xbfb8aa3b
	s_mov_b32 s1, 0xc2b17218
	v_lshlrev_b64 v[0:1], 2, v[0:1]
	s_waitcnt vmcnt(1)
	v_mul_f32_e32 v3, 0xbfb8aa3b, v6
	v_fma_f32 v4, v6, s0, -v3
	v_rndne_f32_e32 v5, v3
	v_fmac_f32_e32 v4, 0xb2a5705f, v6
	v_sub_f32_e32 v3, v3, v5
	v_add_f32_e32 v3, v3, v4
	v_cvt_i32_f32_e32 v5, v5
	v_exp_f32_e32 v3, v3
	s_mov_b32 s0, 0x42ce8ed0
	v_cmp_nlt_f32_e32 vcc, s0, v6
	v_mov_b32_e32 v4, 0x7f800000
	v_ldexp_f32 v3, v3, v5
	v_cndmask_b32_e32 v3, 0, v3, vcc
	v_cmp_ngt_f32_e32 vcc, s1, v6
	v_cndmask_b32_e32 v3, v4, v3, vcc
	v_add_f32_e32 v3, 1.0, v3
	v_div_scale_f32 v4, s[0:1], v3, v3, v6
	v_div_scale_f32 v5, vcc, v6, v3, v6
	v_rcp_f32_e32 v7, v4
	v_fma_f32 v8, -v4, v7, 1.0
	v_fmac_f32_e32 v7, v8, v7
	v_mul_f32_e32 v8, v5, v7
	v_fma_f32 v9, -v4, v8, v5
	v_fmac_f32_e32 v8, v9, v7
	v_fma_f32 v4, -v4, v8, v5
	v_div_fmas_f32 v4, v4, v7, v8
	v_mov_b32_e32 v5, s13
	v_add_co_u32_e32 v0, vcc, s12, v0
	v_addc_co_u32_e32 v1, vcc, v5, v1, vcc
	v_div_fixup_f32 v3, v4, v3, v6
	s_waitcnt vmcnt(0)
	v_mul_f32_e32 v2, v2, v3
	global_store_dword v[0:1], v2, off
.LBB57_8:
	s_endpgm
	.section	.rodata,"a",@progbits
	.p2align	6, 0x0
	.amdhsa_kernel _ZL21unary_gated_op_kernelIXadL_ZL7op_silufEEfEvPKT0_S2_PS0_llll
		.amdhsa_group_segment_fixed_size 0
		.amdhsa_private_segment_fixed_size 0
		.amdhsa_kernarg_size 312
		.amdhsa_user_sgpr_count 6
		.amdhsa_user_sgpr_private_segment_buffer 1
		.amdhsa_user_sgpr_dispatch_ptr 0
		.amdhsa_user_sgpr_queue_ptr 0
		.amdhsa_user_sgpr_kernarg_segment_ptr 1
		.amdhsa_user_sgpr_dispatch_id 0
		.amdhsa_user_sgpr_flat_scratch_init 0
		.amdhsa_user_sgpr_private_segment_size 0
		.amdhsa_uses_dynamic_stack 0
		.amdhsa_system_sgpr_private_segment_wavefront_offset 0
		.amdhsa_system_sgpr_workgroup_id_x 1
		.amdhsa_system_sgpr_workgroup_id_y 0
		.amdhsa_system_sgpr_workgroup_id_z 0
		.amdhsa_system_sgpr_workgroup_info 0
		.amdhsa_system_vgpr_workitem_id 0
		.amdhsa_next_free_vgpr 13
		.amdhsa_next_free_sgpr 27
		.amdhsa_reserve_vcc 1
		.amdhsa_reserve_flat_scratch 0
		.amdhsa_float_round_mode_32 0
		.amdhsa_float_round_mode_16_64 0
		.amdhsa_float_denorm_mode_32 3
		.amdhsa_float_denorm_mode_16_64 3
		.amdhsa_dx10_clamp 1
		.amdhsa_ieee_mode 1
		.amdhsa_fp16_overflow 0
		.amdhsa_exception_fp_ieee_invalid_op 0
		.amdhsa_exception_fp_denorm_src 0
		.amdhsa_exception_fp_ieee_div_zero 0
		.amdhsa_exception_fp_ieee_overflow 0
		.amdhsa_exception_fp_ieee_underflow 0
		.amdhsa_exception_fp_ieee_inexact 0
		.amdhsa_exception_int_div_zero 0
	.end_amdhsa_kernel
	.section	.text._ZL21unary_gated_op_kernelIXadL_ZL7op_silufEEfEvPKT0_S2_PS0_llll,"axG",@progbits,_ZL21unary_gated_op_kernelIXadL_ZL7op_silufEEfEvPKT0_S2_PS0_llll,comdat
.Lfunc_end57:
	.size	_ZL21unary_gated_op_kernelIXadL_ZL7op_silufEEfEvPKT0_S2_PS0_llll, .Lfunc_end57-_ZL21unary_gated_op_kernelIXadL_ZL7op_silufEEfEvPKT0_S2_PS0_llll
                                        ; -- End function
	.set _ZL21unary_gated_op_kernelIXadL_ZL7op_silufEEfEvPKT0_S2_PS0_llll.num_vgpr, 13
	.set _ZL21unary_gated_op_kernelIXadL_ZL7op_silufEEfEvPKT0_S2_PS0_llll.num_agpr, 0
	.set _ZL21unary_gated_op_kernelIXadL_ZL7op_silufEEfEvPKT0_S2_PS0_llll.numbered_sgpr, 27
	.set _ZL21unary_gated_op_kernelIXadL_ZL7op_silufEEfEvPKT0_S2_PS0_llll.num_named_barrier, 0
	.set _ZL21unary_gated_op_kernelIXadL_ZL7op_silufEEfEvPKT0_S2_PS0_llll.private_seg_size, 0
	.set _ZL21unary_gated_op_kernelIXadL_ZL7op_silufEEfEvPKT0_S2_PS0_llll.uses_vcc, 1
	.set _ZL21unary_gated_op_kernelIXadL_ZL7op_silufEEfEvPKT0_S2_PS0_llll.uses_flat_scratch, 0
	.set _ZL21unary_gated_op_kernelIXadL_ZL7op_silufEEfEvPKT0_S2_PS0_llll.has_dyn_sized_stack, 0
	.set _ZL21unary_gated_op_kernelIXadL_ZL7op_silufEEfEvPKT0_S2_PS0_llll.has_recursion, 0
	.set _ZL21unary_gated_op_kernelIXadL_ZL7op_silufEEfEvPKT0_S2_PS0_llll.has_indirect_call, 0
	.section	.AMDGPU.csdata,"",@progbits
; Kernel info:
; codeLenInByte = 1212
; TotalNumSgprs: 31
; NumVgprs: 13
; ScratchSize: 0
; MemoryBound: 0
; FloatMode: 240
; IeeeMode: 1
; LDSByteSize: 0 bytes/workgroup (compile time only)
; SGPRBlocks: 3
; VGPRBlocks: 3
; NumSGPRsForWavesPerEU: 31
; NumVGPRsForWavesPerEU: 13
; Occupancy: 10
; WaveLimiterHint : 0
; COMPUTE_PGM_RSRC2:SCRATCH_EN: 0
; COMPUTE_PGM_RSRC2:USER_SGPR: 6
; COMPUTE_PGM_RSRC2:TRAP_HANDLER: 0
; COMPUTE_PGM_RSRC2:TGID_X_EN: 1
; COMPUTE_PGM_RSRC2:TGID_Y_EN: 0
; COMPUTE_PGM_RSRC2:TGID_Z_EN: 0
; COMPUTE_PGM_RSRC2:TIDIG_COMP_CNT: 0
	.section	.text._ZL21unary_gated_op_kernelIXadL_ZL11op_gelu_erffEE6__halfEvPKT0_S3_PS1_llll,"axG",@progbits,_ZL21unary_gated_op_kernelIXadL_ZL11op_gelu_erffEE6__halfEvPKT0_S3_PS1_llll,comdat
	.globl	_ZL21unary_gated_op_kernelIXadL_ZL11op_gelu_erffEE6__halfEvPKT0_S3_PS1_llll ; -- Begin function _ZL21unary_gated_op_kernelIXadL_ZL11op_gelu_erffEE6__halfEvPKT0_S3_PS1_llll
	.p2align	8
	.type	_ZL21unary_gated_op_kernelIXadL_ZL11op_gelu_erffEE6__halfEvPKT0_S3_PS1_llll,@function
_ZL21unary_gated_op_kernelIXadL_ZL11op_gelu_erffEE6__halfEvPKT0_S3_PS1_llll: ; @_ZL21unary_gated_op_kernelIXadL_ZL11op_gelu_erffEE6__halfEvPKT0_S3_PS1_llll
; %bb.0:
	s_load_dword s0, s[4:5], 0x44
	v_mov_b32_e32 v2, 0
	s_load_dwordx8 s[8:15], s[4:5], 0x0
	v_mov_b32_e32 v1, v2
	v_mov_b32_e32 v3, s6
	s_waitcnt lgkmcnt(0)
	s_and_b32 s0, s0, 0xffff
	v_mad_u64_u32 v[0:1], s[0:1], s0, v3, v[0:1]
	v_cmp_gt_i64_e32 vcc, s[14:15], v[0:1]
	s_and_saveexec_b64 s[0:1], vcc
	s_cbranch_execz .LBB58_12
; %bb.1:
	s_load_dwordx8 s[16:23], s[4:5], 0x20
                                        ; implicit-def: $vgpr4_vgpr5
	s_waitcnt lgkmcnt(0)
	v_or_b32_e32 v3, s17, v1
	v_cmp_ne_u64_e32 vcc, 0, v[2:3]
	s_and_saveexec_b64 s[0:1], vcc
	s_xor_b64 s[2:3], exec, s[0:1]
	s_cbranch_execz .LBB58_3
; %bb.2:
	s_ashr_i32 s4, s17, 31
	s_add_u32 s0, s16, s4
	s_mov_b32 s5, s4
	s_addc_u32 s1, s17, s4
	s_xor_b64 s[6:7], s[0:1], s[4:5]
	v_cvt_f32_u32_e32 v2, s6
	v_cvt_f32_u32_e32 v3, s7
	s_sub_u32 s5, 0, s6
	s_subb_u32 s14, 0, s7
	v_ashrrev_i32_e32 v6, 31, v1
	v_madmk_f32 v2, v3, 0x4f800000, v2
	v_rcp_f32_e32 v2, v2
	v_mul_f32_e32 v2, 0x5f7ffffc, v2
	v_mul_f32_e32 v3, 0x2f800000, v2
	v_trunc_f32_e32 v3, v3
	v_madmk_f32 v2, v3, 0xcf800000, v2
	v_cvt_u32_f32_e32 v3, v3
	v_cvt_u32_f32_e32 v2, v2
	v_readfirstlane_b32 s15, v3
	v_readfirstlane_b32 s0, v2
	s_mul_i32 s1, s5, s15
	s_mul_hi_u32 s23, s5, s0
	s_mul_i32 s22, s14, s0
	s_add_i32 s1, s23, s1
	s_add_i32 s1, s1, s22
	s_mul_i32 s24, s5, s0
	s_mul_i32 s23, s0, s1
	s_mul_hi_u32 s25, s0, s24
	s_mul_hi_u32 s22, s0, s1
	s_add_u32 s23, s25, s23
	s_addc_u32 s22, 0, s22
	s_mul_hi_u32 s26, s15, s24
	s_mul_i32 s24, s15, s24
	s_add_u32 s23, s23, s24
	s_mul_hi_u32 s25, s15, s1
	s_addc_u32 s22, s22, s26
	s_addc_u32 s23, s25, 0
	s_mul_i32 s1, s15, s1
	s_add_u32 s1, s22, s1
	s_addc_u32 s22, 0, s23
	s_add_u32 s23, s0, s1
	s_cselect_b64 s[0:1], -1, 0
	s_cmp_lg_u64 s[0:1], 0
	s_addc_u32 s15, s15, s22
	s_mul_i32 s0, s5, s15
	s_mul_hi_u32 s1, s5, s23
	s_add_i32 s0, s1, s0
	s_mul_i32 s14, s14, s23
	s_add_i32 s0, s0, s14
	s_mul_i32 s5, s5, s23
	s_mul_hi_u32 s14, s15, s5
	s_mul_i32 s22, s15, s5
	s_mul_i32 s25, s23, s0
	s_mul_hi_u32 s5, s23, s5
	s_mul_hi_u32 s24, s23, s0
	s_add_u32 s5, s5, s25
	s_addc_u32 s24, 0, s24
	s_add_u32 s5, s5, s22
	s_mul_hi_u32 s1, s15, s0
	s_addc_u32 s5, s24, s14
	s_addc_u32 s1, s1, 0
	s_mul_i32 s0, s15, s0
	s_add_u32 s0, s5, s0
	s_addc_u32 s5, 0, s1
	s_add_u32 s14, s23, s0
	s_cselect_b64 s[0:1], -1, 0
	s_cmp_lg_u64 s[0:1], 0
	v_add_co_u32_e32 v2, vcc, v0, v6
	s_addc_u32 s5, s15, s5
	v_xor_b32_e32 v7, v2, v6
	v_mad_u64_u32 v[2:3], s[0:1], v7, s5, 0
	v_mul_hi_u32 v5, v7, s14
	v_addc_co_u32_e32 v4, vcc, v1, v6, vcc
	v_xor_b32_e32 v8, v4, v6
	v_add_co_u32_e32 v9, vcc, v5, v2
	v_addc_co_u32_e32 v10, vcc, 0, v3, vcc
	v_mad_u64_u32 v[2:3], s[0:1], v8, s14, 0
	v_mad_u64_u32 v[4:5], s[0:1], v8, s5, 0
	v_add_co_u32_e32 v2, vcc, v9, v2
	v_addc_co_u32_e32 v2, vcc, v10, v3, vcc
	v_addc_co_u32_e32 v3, vcc, 0, v5, vcc
	v_add_co_u32_e32 v4, vcc, v2, v4
	v_addc_co_u32_e32 v5, vcc, 0, v3, vcc
	v_mul_lo_u32 v9, s7, v4
	v_mul_lo_u32 v10, s6, v5
	v_mad_u64_u32 v[2:3], s[0:1], s6, v4, 0
	v_add3_u32 v3, v3, v10, v9
	v_sub_u32_e32 v9, v8, v3
	v_mov_b32_e32 v10, s7
	v_sub_co_u32_e32 v2, vcc, v7, v2
	v_subb_co_u32_e64 v7, s[0:1], v9, v10, vcc
	v_subrev_co_u32_e64 v9, s[0:1], s6, v2
	v_subbrev_co_u32_e64 v7, s[0:1], 0, v7, s[0:1]
	v_cmp_le_u32_e64 s[0:1], s7, v7
	v_cndmask_b32_e64 v10, 0, -1, s[0:1]
	v_cmp_le_u32_e64 s[0:1], s6, v9
	v_cndmask_b32_e64 v9, 0, -1, s[0:1]
	v_cmp_eq_u32_e64 s[0:1], s7, v7
	v_cndmask_b32_e64 v7, v10, v9, s[0:1]
	v_add_co_u32_e64 v9, s[0:1], 2, v4
	v_subb_co_u32_e32 v3, vcc, v8, v3, vcc
	v_addc_co_u32_e64 v10, s[0:1], 0, v5, s[0:1]
	v_cmp_le_u32_e32 vcc, s7, v3
	v_add_co_u32_e64 v11, s[0:1], 1, v4
	v_cndmask_b32_e64 v8, 0, -1, vcc
	v_cmp_le_u32_e32 vcc, s6, v2
	v_addc_co_u32_e64 v12, s[0:1], 0, v5, s[0:1]
	v_cndmask_b32_e64 v2, 0, -1, vcc
	v_cmp_eq_u32_e32 vcc, s7, v3
	v_cmp_ne_u32_e64 s[0:1], 0, v7
	v_cndmask_b32_e32 v2, v8, v2, vcc
	v_cndmask_b32_e64 v7, v12, v10, s[0:1]
	v_cmp_ne_u32_e32 vcc, 0, v2
	v_cndmask_b32_e64 v3, v11, v9, s[0:1]
	v_cndmask_b32_e32 v2, v5, v7, vcc
	v_cndmask_b32_e32 v3, v4, v3, vcc
	v_xor_b32_e32 v5, s4, v6
	v_xor_b32_e32 v3, v3, v5
	v_xor_b32_e32 v2, v2, v5
	v_sub_co_u32_e32 v4, vcc, v3, v5
	v_subb_co_u32_e32 v5, vcc, v2, v5, vcc
.LBB58_3:
	s_andn2_saveexec_b64 s[0:1], s[2:3]
	s_cbranch_execz .LBB58_5
; %bb.4:
	v_cvt_f32_u32_e32 v2, s16
	s_sub_i32 s2, 0, s16
	v_rcp_iflag_f32_e32 v2, v2
	v_mul_f32_e32 v2, 0x4f7ffffe, v2
	v_cvt_u32_f32_e32 v2, v2
	v_mul_lo_u32 v3, s2, v2
	v_mul_hi_u32 v3, v2, v3
	v_add_u32_e32 v2, v2, v3
	v_mul_hi_u32 v2, v0, v2
	v_mul_lo_u32 v3, v2, s16
	v_add_u32_e32 v4, 1, v2
	v_sub_u32_e32 v3, v0, v3
	v_subrev_u32_e32 v5, s16, v3
	v_cmp_le_u32_e32 vcc, s16, v3
	v_cndmask_b32_e32 v3, v3, v5, vcc
	v_cndmask_b32_e32 v2, v2, v4, vcc
	v_add_u32_e32 v4, 1, v2
	v_cmp_le_u32_e32 vcc, s16, v3
	v_cndmask_b32_e32 v4, v2, v4, vcc
	v_mov_b32_e32 v5, 0
.LBB58_5:
	s_or_b64 exec, exec, s[0:1]
	v_mul_lo_u32 v6, v5, s16
	v_mul_lo_u32 v7, v4, s17
	v_mad_u64_u32 v[2:3], s[0:1], v4, s16, 0
	s_cmp_eq_u64 s[18:19], s[20:21]
	v_add3_u32 v3, v3, v7, v6
	v_sub_co_u32_e32 v8, vcc, v0, v2
	v_subb_co_u32_e32 v9, vcc, v1, v3, vcc
	v_mad_u64_u32 v[6:7], s[0:1], v4, s18, v[8:9]
	v_mul_lo_u32 v2, v4, s19
	v_mul_lo_u32 v3, v5, s18
	v_add3_u32 v7, v3, v7, v2
	v_mov_b32_e32 v2, v6
	v_mov_b32_e32 v3, v7
	s_cbranch_scc1 .LBB58_7
; %bb.6:
	v_mad_u64_u32 v[2:3], s[0:1], v4, s20, v[8:9]
	v_mul_lo_u32 v4, v4, s21
	v_mul_lo_u32 v5, v5, s20
	v_add3_u32 v3, v5, v3, v4
.LBB58_7:
	v_lshlrev_b64 v[4:5], 1, v[6:7]
	v_mov_b32_e32 v6, s9
	v_add_co_u32_e32 v4, vcc, s8, v4
	v_addc_co_u32_e32 v5, vcc, v6, v5, vcc
	global_load_ushort v4, v[4:5], off
                                        ; implicit-def: $vgpr6
	s_waitcnt vmcnt(0)
	v_cvt_f32_f16_e32 v5, v4
	v_mul_f32_e32 v4, 0x3f3504f3, v5
	v_cmp_nlt_f32_e64 s[0:1], |v4|, 1.0
	s_and_saveexec_b64 s[2:3], s[0:1]
	s_xor_b64 s[0:1], exec, s[2:3]
	s_cbranch_execz .LBB58_9
; %bb.8:
	s_mov_b32 s2, 0x378e98ab
	v_mov_b32_e32 v6, 0xb9c68948
	v_fma_f32 v6, |v4|, s2, v6
	s_mov_b32 s2, 0x3b7cd369
	v_fma_f32 v6, |v4|, v6, s2
	s_mov_b32 s2, 0xbcc618b2
	;; [unrolled: 2-line block ×5, first 2 shown]
	v_fma_f32 v6, |v4|, v6, s2
	v_fma_f32 v6, |v4|, v6, |v4|
	s_mov_b32 s2, 0xbfb8aa3b
	v_mul_f32_e32 v7, 0xbfb8aa3b, v6
	v_fma_f32 v8, v6, s2, -v7
	v_rndne_f32_e32 v9, v7
	v_fmac_f32_e32 v8, 0xb2a5705f, v6
	v_sub_f32_e32 v7, v7, v9
	v_add_f32_e32 v7, v7, v8
	v_exp_f32_e32 v7, v7
	v_cvt_i32_f32_e32 v8, v9
	s_mov_b32 s2, 0x42ce8ed0
	v_cmp_nlt_f32_e32 vcc, s2, v6
	s_mov_b32 s2, 0xc2b17218
	v_ldexp_f32 v7, v7, v8
	v_cndmask_b32_e32 v7, 0, v7, vcc
	v_mov_b32_e32 v8, 0x7f800000
	v_cmp_ngt_f32_e32 vcc, s2, v6
	v_cndmask_b32_e32 v6, v8, v7, vcc
	v_sub_f32_e32 v6, 1.0, v6
.LBB58_9:
	s_andn2_saveexec_b64 s[0:1], s[0:1]
	s_cbranch_execz .LBB58_11
; %bb.10:
	v_mul_f32_e32 v6, v4, v4
	v_mov_b32_e32 v7, 0x3ba10414
	v_fmac_f32_e32 v7, 0xba1345e1, v6
	v_mov_b32_e32 v8, 0xbcdac9b8
	v_fmac_f32_e32 v8, v6, v7
	;; [unrolled: 2-line block ×5, first 2 shown]
	v_fma_f32 v6, |v4|, v7, |v4|
.LBB58_11:
	s_or_b64 exec, exec, s[0:1]
	v_lshlrev_b64 v[2:3], 1, v[2:3]
	v_mov_b32_e32 v7, s11
	v_add_co_u32_e32 v2, vcc, s10, v2
	v_addc_co_u32_e32 v3, vcc, v7, v3, vcc
	global_load_ushort v2, v[2:3], off
	s_brev_b32 s0, -2
	v_lshlrev_b64 v[0:1], 1, v[0:1]
	v_bfi_b32 v4, s0, v6, v4
	v_mul_f32_e32 v3, 0.5, v5
	v_add_f32_e32 v4, 1.0, v4
	v_mov_b32_e32 v5, s13
	v_mul_f32_e32 v3, v3, v4
	v_add_co_u32_e32 v0, vcc, s12, v0
	v_addc_co_u32_e32 v1, vcc, v5, v1, vcc
	s_waitcnt vmcnt(0)
	v_fma_mixlo_f16 v2, v3, v2, 0 op_sel_hi:[0,1,0]
	global_store_short v[0:1], v2, off
.LBB58_12:
	s_endpgm
	.section	.rodata,"a",@progbits
	.p2align	6, 0x0
	.amdhsa_kernel _ZL21unary_gated_op_kernelIXadL_ZL11op_gelu_erffEE6__halfEvPKT0_S3_PS1_llll
		.amdhsa_group_segment_fixed_size 0
		.amdhsa_private_segment_fixed_size 0
		.amdhsa_kernarg_size 312
		.amdhsa_user_sgpr_count 6
		.amdhsa_user_sgpr_private_segment_buffer 1
		.amdhsa_user_sgpr_dispatch_ptr 0
		.amdhsa_user_sgpr_queue_ptr 0
		.amdhsa_user_sgpr_kernarg_segment_ptr 1
		.amdhsa_user_sgpr_dispatch_id 0
		.amdhsa_user_sgpr_flat_scratch_init 0
		.amdhsa_user_sgpr_private_segment_size 0
		.amdhsa_uses_dynamic_stack 0
		.amdhsa_system_sgpr_private_segment_wavefront_offset 0
		.amdhsa_system_sgpr_workgroup_id_x 1
		.amdhsa_system_sgpr_workgroup_id_y 0
		.amdhsa_system_sgpr_workgroup_id_z 0
		.amdhsa_system_sgpr_workgroup_info 0
		.amdhsa_system_vgpr_workitem_id 0
		.amdhsa_next_free_vgpr 13
		.amdhsa_next_free_sgpr 27
		.amdhsa_reserve_vcc 1
		.amdhsa_reserve_flat_scratch 0
		.amdhsa_float_round_mode_32 0
		.amdhsa_float_round_mode_16_64 0
		.amdhsa_float_denorm_mode_32 3
		.amdhsa_float_denorm_mode_16_64 3
		.amdhsa_dx10_clamp 1
		.amdhsa_ieee_mode 1
		.amdhsa_fp16_overflow 0
		.amdhsa_exception_fp_ieee_invalid_op 0
		.amdhsa_exception_fp_denorm_src 0
		.amdhsa_exception_fp_ieee_div_zero 0
		.amdhsa_exception_fp_ieee_overflow 0
		.amdhsa_exception_fp_ieee_underflow 0
		.amdhsa_exception_fp_ieee_inexact 0
		.amdhsa_exception_int_div_zero 0
	.end_amdhsa_kernel
	.section	.text._ZL21unary_gated_op_kernelIXadL_ZL11op_gelu_erffEE6__halfEvPKT0_S3_PS1_llll,"axG",@progbits,_ZL21unary_gated_op_kernelIXadL_ZL11op_gelu_erffEE6__halfEvPKT0_S3_PS1_llll,comdat
.Lfunc_end58:
	.size	_ZL21unary_gated_op_kernelIXadL_ZL11op_gelu_erffEE6__halfEvPKT0_S3_PS1_llll, .Lfunc_end58-_ZL21unary_gated_op_kernelIXadL_ZL11op_gelu_erffEE6__halfEvPKT0_S3_PS1_llll
                                        ; -- End function
	.set _ZL21unary_gated_op_kernelIXadL_ZL11op_gelu_erffEE6__halfEvPKT0_S3_PS1_llll.num_vgpr, 13
	.set _ZL21unary_gated_op_kernelIXadL_ZL11op_gelu_erffEE6__halfEvPKT0_S3_PS1_llll.num_agpr, 0
	.set _ZL21unary_gated_op_kernelIXadL_ZL11op_gelu_erffEE6__halfEvPKT0_S3_PS1_llll.numbered_sgpr, 27
	.set _ZL21unary_gated_op_kernelIXadL_ZL11op_gelu_erffEE6__halfEvPKT0_S3_PS1_llll.num_named_barrier, 0
	.set _ZL21unary_gated_op_kernelIXadL_ZL11op_gelu_erffEE6__halfEvPKT0_S3_PS1_llll.private_seg_size, 0
	.set _ZL21unary_gated_op_kernelIXadL_ZL11op_gelu_erffEE6__halfEvPKT0_S3_PS1_llll.uses_vcc, 1
	.set _ZL21unary_gated_op_kernelIXadL_ZL11op_gelu_erffEE6__halfEvPKT0_S3_PS1_llll.uses_flat_scratch, 0
	.set _ZL21unary_gated_op_kernelIXadL_ZL11op_gelu_erffEE6__halfEvPKT0_S3_PS1_llll.has_dyn_sized_stack, 0
	.set _ZL21unary_gated_op_kernelIXadL_ZL11op_gelu_erffEE6__halfEvPKT0_S3_PS1_llll.has_recursion, 0
	.set _ZL21unary_gated_op_kernelIXadL_ZL11op_gelu_erffEE6__halfEvPKT0_S3_PS1_llll.has_indirect_call, 0
	.section	.AMDGPU.csdata,"",@progbits
; Kernel info:
; codeLenInByte = 1400
; TotalNumSgprs: 31
; NumVgprs: 13
; ScratchSize: 0
; MemoryBound: 0
; FloatMode: 240
; IeeeMode: 1
; LDSByteSize: 0 bytes/workgroup (compile time only)
; SGPRBlocks: 3
; VGPRBlocks: 3
; NumSGPRsForWavesPerEU: 31
; NumVGPRsForWavesPerEU: 13
; Occupancy: 10
; WaveLimiterHint : 0
; COMPUTE_PGM_RSRC2:SCRATCH_EN: 0
; COMPUTE_PGM_RSRC2:USER_SGPR: 6
; COMPUTE_PGM_RSRC2:TRAP_HANDLER: 0
; COMPUTE_PGM_RSRC2:TGID_X_EN: 1
; COMPUTE_PGM_RSRC2:TGID_Y_EN: 0
; COMPUTE_PGM_RSRC2:TGID_Z_EN: 0
; COMPUTE_PGM_RSRC2:TIDIG_COMP_CNT: 0
	.section	.text._ZL21unary_gated_op_kernelIXadL_ZL11op_gelu_erffEEfEvPKT0_S2_PS0_llll,"axG",@progbits,_ZL21unary_gated_op_kernelIXadL_ZL11op_gelu_erffEEfEvPKT0_S2_PS0_llll,comdat
	.globl	_ZL21unary_gated_op_kernelIXadL_ZL11op_gelu_erffEEfEvPKT0_S2_PS0_llll ; -- Begin function _ZL21unary_gated_op_kernelIXadL_ZL11op_gelu_erffEEfEvPKT0_S2_PS0_llll
	.p2align	8
	.type	_ZL21unary_gated_op_kernelIXadL_ZL11op_gelu_erffEEfEvPKT0_S2_PS0_llll,@function
_ZL21unary_gated_op_kernelIXadL_ZL11op_gelu_erffEEfEvPKT0_S2_PS0_llll: ; @_ZL21unary_gated_op_kernelIXadL_ZL11op_gelu_erffEEfEvPKT0_S2_PS0_llll
; %bb.0:
	s_load_dword s0, s[4:5], 0x44
	v_mov_b32_e32 v2, 0
	s_load_dwordx8 s[8:15], s[4:5], 0x0
	v_mov_b32_e32 v1, v2
	v_mov_b32_e32 v3, s6
	s_waitcnt lgkmcnt(0)
	s_and_b32 s0, s0, 0xffff
	v_mad_u64_u32 v[0:1], s[0:1], s0, v3, v[0:1]
	v_cmp_gt_i64_e32 vcc, s[14:15], v[0:1]
	s_and_saveexec_b64 s[0:1], vcc
	s_cbranch_execz .LBB59_12
; %bb.1:
	s_load_dwordx8 s[16:23], s[4:5], 0x20
                                        ; implicit-def: $vgpr4_vgpr5
	s_waitcnt lgkmcnt(0)
	v_or_b32_e32 v3, s17, v1
	v_cmp_ne_u64_e32 vcc, 0, v[2:3]
	s_and_saveexec_b64 s[0:1], vcc
	s_xor_b64 s[2:3], exec, s[0:1]
	s_cbranch_execz .LBB59_3
; %bb.2:
	s_ashr_i32 s4, s17, 31
	s_add_u32 s0, s16, s4
	s_mov_b32 s5, s4
	s_addc_u32 s1, s17, s4
	s_xor_b64 s[6:7], s[0:1], s[4:5]
	v_cvt_f32_u32_e32 v2, s6
	v_cvt_f32_u32_e32 v3, s7
	s_sub_u32 s5, 0, s6
	s_subb_u32 s14, 0, s7
	v_ashrrev_i32_e32 v6, 31, v1
	v_madmk_f32 v2, v3, 0x4f800000, v2
	v_rcp_f32_e32 v2, v2
	v_mul_f32_e32 v2, 0x5f7ffffc, v2
	v_mul_f32_e32 v3, 0x2f800000, v2
	v_trunc_f32_e32 v3, v3
	v_madmk_f32 v2, v3, 0xcf800000, v2
	v_cvt_u32_f32_e32 v3, v3
	v_cvt_u32_f32_e32 v2, v2
	v_readfirstlane_b32 s15, v3
	v_readfirstlane_b32 s0, v2
	s_mul_i32 s1, s5, s15
	s_mul_hi_u32 s23, s5, s0
	s_mul_i32 s22, s14, s0
	s_add_i32 s1, s23, s1
	s_add_i32 s1, s1, s22
	s_mul_i32 s24, s5, s0
	s_mul_i32 s23, s0, s1
	s_mul_hi_u32 s25, s0, s24
	s_mul_hi_u32 s22, s0, s1
	s_add_u32 s23, s25, s23
	s_addc_u32 s22, 0, s22
	s_mul_hi_u32 s26, s15, s24
	s_mul_i32 s24, s15, s24
	s_add_u32 s23, s23, s24
	s_mul_hi_u32 s25, s15, s1
	s_addc_u32 s22, s22, s26
	s_addc_u32 s23, s25, 0
	s_mul_i32 s1, s15, s1
	s_add_u32 s1, s22, s1
	s_addc_u32 s22, 0, s23
	s_add_u32 s23, s0, s1
	s_cselect_b64 s[0:1], -1, 0
	s_cmp_lg_u64 s[0:1], 0
	s_addc_u32 s15, s15, s22
	s_mul_i32 s0, s5, s15
	s_mul_hi_u32 s1, s5, s23
	s_add_i32 s0, s1, s0
	s_mul_i32 s14, s14, s23
	s_add_i32 s0, s0, s14
	s_mul_i32 s5, s5, s23
	s_mul_hi_u32 s14, s15, s5
	s_mul_i32 s22, s15, s5
	s_mul_i32 s25, s23, s0
	s_mul_hi_u32 s5, s23, s5
	s_mul_hi_u32 s24, s23, s0
	s_add_u32 s5, s5, s25
	s_addc_u32 s24, 0, s24
	s_add_u32 s5, s5, s22
	s_mul_hi_u32 s1, s15, s0
	s_addc_u32 s5, s24, s14
	s_addc_u32 s1, s1, 0
	s_mul_i32 s0, s15, s0
	s_add_u32 s0, s5, s0
	s_addc_u32 s5, 0, s1
	s_add_u32 s14, s23, s0
	s_cselect_b64 s[0:1], -1, 0
	s_cmp_lg_u64 s[0:1], 0
	v_add_co_u32_e32 v2, vcc, v0, v6
	s_addc_u32 s5, s15, s5
	v_xor_b32_e32 v7, v2, v6
	v_mad_u64_u32 v[2:3], s[0:1], v7, s5, 0
	v_mul_hi_u32 v5, v7, s14
	v_addc_co_u32_e32 v4, vcc, v1, v6, vcc
	v_xor_b32_e32 v8, v4, v6
	v_add_co_u32_e32 v9, vcc, v5, v2
	v_addc_co_u32_e32 v10, vcc, 0, v3, vcc
	v_mad_u64_u32 v[2:3], s[0:1], v8, s14, 0
	v_mad_u64_u32 v[4:5], s[0:1], v8, s5, 0
	v_add_co_u32_e32 v2, vcc, v9, v2
	v_addc_co_u32_e32 v2, vcc, v10, v3, vcc
	v_addc_co_u32_e32 v3, vcc, 0, v5, vcc
	v_add_co_u32_e32 v4, vcc, v2, v4
	v_addc_co_u32_e32 v5, vcc, 0, v3, vcc
	v_mul_lo_u32 v9, s7, v4
	v_mul_lo_u32 v10, s6, v5
	v_mad_u64_u32 v[2:3], s[0:1], s6, v4, 0
	v_add3_u32 v3, v3, v10, v9
	v_sub_u32_e32 v9, v8, v3
	v_mov_b32_e32 v10, s7
	v_sub_co_u32_e32 v2, vcc, v7, v2
	v_subb_co_u32_e64 v7, s[0:1], v9, v10, vcc
	v_subrev_co_u32_e64 v9, s[0:1], s6, v2
	v_subbrev_co_u32_e64 v7, s[0:1], 0, v7, s[0:1]
	v_cmp_le_u32_e64 s[0:1], s7, v7
	v_cndmask_b32_e64 v10, 0, -1, s[0:1]
	v_cmp_le_u32_e64 s[0:1], s6, v9
	v_cndmask_b32_e64 v9, 0, -1, s[0:1]
	v_cmp_eq_u32_e64 s[0:1], s7, v7
	v_cndmask_b32_e64 v7, v10, v9, s[0:1]
	v_add_co_u32_e64 v9, s[0:1], 2, v4
	v_subb_co_u32_e32 v3, vcc, v8, v3, vcc
	v_addc_co_u32_e64 v10, s[0:1], 0, v5, s[0:1]
	v_cmp_le_u32_e32 vcc, s7, v3
	v_add_co_u32_e64 v11, s[0:1], 1, v4
	v_cndmask_b32_e64 v8, 0, -1, vcc
	v_cmp_le_u32_e32 vcc, s6, v2
	v_addc_co_u32_e64 v12, s[0:1], 0, v5, s[0:1]
	v_cndmask_b32_e64 v2, 0, -1, vcc
	v_cmp_eq_u32_e32 vcc, s7, v3
	v_cmp_ne_u32_e64 s[0:1], 0, v7
	v_cndmask_b32_e32 v2, v8, v2, vcc
	v_cndmask_b32_e64 v7, v12, v10, s[0:1]
	v_cmp_ne_u32_e32 vcc, 0, v2
	v_cndmask_b32_e64 v3, v11, v9, s[0:1]
	v_cndmask_b32_e32 v2, v5, v7, vcc
	v_cndmask_b32_e32 v3, v4, v3, vcc
	v_xor_b32_e32 v5, s4, v6
	v_xor_b32_e32 v3, v3, v5
	v_xor_b32_e32 v2, v2, v5
	v_sub_co_u32_e32 v4, vcc, v3, v5
	v_subb_co_u32_e32 v5, vcc, v2, v5, vcc
.LBB59_3:
	s_andn2_saveexec_b64 s[0:1], s[2:3]
	s_cbranch_execz .LBB59_5
; %bb.4:
	v_cvt_f32_u32_e32 v2, s16
	s_sub_i32 s2, 0, s16
	v_rcp_iflag_f32_e32 v2, v2
	v_mul_f32_e32 v2, 0x4f7ffffe, v2
	v_cvt_u32_f32_e32 v2, v2
	v_mul_lo_u32 v3, s2, v2
	v_mul_hi_u32 v3, v2, v3
	v_add_u32_e32 v2, v2, v3
	v_mul_hi_u32 v2, v0, v2
	v_mul_lo_u32 v3, v2, s16
	v_add_u32_e32 v4, 1, v2
	v_sub_u32_e32 v3, v0, v3
	v_subrev_u32_e32 v5, s16, v3
	v_cmp_le_u32_e32 vcc, s16, v3
	v_cndmask_b32_e32 v3, v3, v5, vcc
	v_cndmask_b32_e32 v2, v2, v4, vcc
	v_add_u32_e32 v4, 1, v2
	v_cmp_le_u32_e32 vcc, s16, v3
	v_cndmask_b32_e32 v4, v2, v4, vcc
	v_mov_b32_e32 v5, 0
.LBB59_5:
	s_or_b64 exec, exec, s[0:1]
	v_mul_lo_u32 v6, v5, s16
	v_mul_lo_u32 v7, v4, s17
	v_mad_u64_u32 v[2:3], s[0:1], v4, s16, 0
	s_cmp_eq_u64 s[18:19], s[20:21]
	v_add3_u32 v3, v3, v7, v6
	v_sub_co_u32_e32 v8, vcc, v0, v2
	v_subb_co_u32_e32 v9, vcc, v1, v3, vcc
	v_mad_u64_u32 v[6:7], s[0:1], v4, s18, v[8:9]
	v_mul_lo_u32 v2, v4, s19
	v_mul_lo_u32 v3, v5, s18
	v_add3_u32 v7, v3, v7, v2
	v_mov_b32_e32 v2, v6
	v_mov_b32_e32 v3, v7
	s_cbranch_scc1 .LBB59_7
; %bb.6:
	v_mad_u64_u32 v[2:3], s[0:1], v4, s20, v[8:9]
	v_mul_lo_u32 v4, v4, s21
	v_mul_lo_u32 v5, v5, s20
	v_add3_u32 v3, v5, v3, v4
.LBB59_7:
	v_lshlrev_b64 v[4:5], 2, v[6:7]
	v_mov_b32_e32 v6, s9
	v_add_co_u32_e32 v4, vcc, s8, v4
	v_addc_co_u32_e32 v5, vcc, v6, v5, vcc
	global_load_dword v5, v[4:5], off
                                        ; implicit-def: $vgpr6
	s_waitcnt vmcnt(0)
	v_mul_f32_e32 v4, 0x3f3504f3, v5
	v_cmp_nlt_f32_e64 s[0:1], |v4|, 1.0
	s_and_saveexec_b64 s[2:3], s[0:1]
	s_xor_b64 s[0:1], exec, s[2:3]
	s_cbranch_execz .LBB59_9
; %bb.8:
	s_mov_b32 s2, 0x378e98ab
	v_mov_b32_e32 v6, 0xb9c68948
	v_fma_f32 v6, |v4|, s2, v6
	s_mov_b32 s2, 0x3b7cd369
	v_fma_f32 v6, |v4|, v6, s2
	s_mov_b32 s2, 0xbcc618b2
	;; [unrolled: 2-line block ×5, first 2 shown]
	v_fma_f32 v6, |v4|, v6, s2
	v_fma_f32 v6, |v4|, v6, |v4|
	s_mov_b32 s2, 0xbfb8aa3b
	v_mul_f32_e32 v7, 0xbfb8aa3b, v6
	v_fma_f32 v8, v6, s2, -v7
	v_rndne_f32_e32 v9, v7
	v_fmac_f32_e32 v8, 0xb2a5705f, v6
	v_sub_f32_e32 v7, v7, v9
	v_add_f32_e32 v7, v7, v8
	v_exp_f32_e32 v7, v7
	v_cvt_i32_f32_e32 v8, v9
	s_mov_b32 s2, 0x42ce8ed0
	v_cmp_nlt_f32_e32 vcc, s2, v6
	s_mov_b32 s2, 0xc2b17218
	v_ldexp_f32 v7, v7, v8
	v_cndmask_b32_e32 v7, 0, v7, vcc
	v_mov_b32_e32 v8, 0x7f800000
	v_cmp_ngt_f32_e32 vcc, s2, v6
	v_cndmask_b32_e32 v6, v8, v7, vcc
	v_sub_f32_e32 v6, 1.0, v6
.LBB59_9:
	s_andn2_saveexec_b64 s[0:1], s[0:1]
	s_cbranch_execz .LBB59_11
; %bb.10:
	v_mul_f32_e32 v6, v4, v4
	v_mov_b32_e32 v7, 0x3ba10414
	v_fmac_f32_e32 v7, 0xba1345e1, v6
	v_mov_b32_e32 v8, 0xbcdac9b8
	v_fmac_f32_e32 v8, v6, v7
	;; [unrolled: 2-line block ×5, first 2 shown]
	v_fma_f32 v6, |v4|, v7, |v4|
.LBB59_11:
	s_or_b64 exec, exec, s[0:1]
	v_lshlrev_b64 v[2:3], 2, v[2:3]
	v_mov_b32_e32 v7, s11
	v_add_co_u32_e32 v2, vcc, s10, v2
	v_addc_co_u32_e32 v3, vcc, v7, v3, vcc
	global_load_dword v2, v[2:3], off
	s_brev_b32 s0, -2
	v_lshlrev_b64 v[0:1], 2, v[0:1]
	v_bfi_b32 v4, s0, v6, v4
	v_mul_f32_e32 v3, 0.5, v5
	v_add_f32_e32 v4, 1.0, v4
	v_mov_b32_e32 v5, s13
	v_mul_f32_e32 v3, v3, v4
	v_add_co_u32_e32 v0, vcc, s12, v0
	v_addc_co_u32_e32 v1, vcc, v5, v1, vcc
	s_waitcnt vmcnt(0)
	v_mul_f32_e32 v2, v2, v3
	global_store_dword v[0:1], v2, off
.LBB59_12:
	s_endpgm
	.section	.rodata,"a",@progbits
	.p2align	6, 0x0
	.amdhsa_kernel _ZL21unary_gated_op_kernelIXadL_ZL11op_gelu_erffEEfEvPKT0_S2_PS0_llll
		.amdhsa_group_segment_fixed_size 0
		.amdhsa_private_segment_fixed_size 0
		.amdhsa_kernarg_size 312
		.amdhsa_user_sgpr_count 6
		.amdhsa_user_sgpr_private_segment_buffer 1
		.amdhsa_user_sgpr_dispatch_ptr 0
		.amdhsa_user_sgpr_queue_ptr 0
		.amdhsa_user_sgpr_kernarg_segment_ptr 1
		.amdhsa_user_sgpr_dispatch_id 0
		.amdhsa_user_sgpr_flat_scratch_init 0
		.amdhsa_user_sgpr_private_segment_size 0
		.amdhsa_uses_dynamic_stack 0
		.amdhsa_system_sgpr_private_segment_wavefront_offset 0
		.amdhsa_system_sgpr_workgroup_id_x 1
		.amdhsa_system_sgpr_workgroup_id_y 0
		.amdhsa_system_sgpr_workgroup_id_z 0
		.amdhsa_system_sgpr_workgroup_info 0
		.amdhsa_system_vgpr_workitem_id 0
		.amdhsa_next_free_vgpr 13
		.amdhsa_next_free_sgpr 27
		.amdhsa_reserve_vcc 1
		.amdhsa_reserve_flat_scratch 0
		.amdhsa_float_round_mode_32 0
		.amdhsa_float_round_mode_16_64 0
		.amdhsa_float_denorm_mode_32 3
		.amdhsa_float_denorm_mode_16_64 3
		.amdhsa_dx10_clamp 1
		.amdhsa_ieee_mode 1
		.amdhsa_fp16_overflow 0
		.amdhsa_exception_fp_ieee_invalid_op 0
		.amdhsa_exception_fp_denorm_src 0
		.amdhsa_exception_fp_ieee_div_zero 0
		.amdhsa_exception_fp_ieee_overflow 0
		.amdhsa_exception_fp_ieee_underflow 0
		.amdhsa_exception_fp_ieee_inexact 0
		.amdhsa_exception_int_div_zero 0
	.end_amdhsa_kernel
	.section	.text._ZL21unary_gated_op_kernelIXadL_ZL11op_gelu_erffEEfEvPKT0_S2_PS0_llll,"axG",@progbits,_ZL21unary_gated_op_kernelIXadL_ZL11op_gelu_erffEEfEvPKT0_S2_PS0_llll,comdat
.Lfunc_end59:
	.size	_ZL21unary_gated_op_kernelIXadL_ZL11op_gelu_erffEEfEvPKT0_S2_PS0_llll, .Lfunc_end59-_ZL21unary_gated_op_kernelIXadL_ZL11op_gelu_erffEEfEvPKT0_S2_PS0_llll
                                        ; -- End function
	.set _ZL21unary_gated_op_kernelIXadL_ZL11op_gelu_erffEEfEvPKT0_S2_PS0_llll.num_vgpr, 13
	.set _ZL21unary_gated_op_kernelIXadL_ZL11op_gelu_erffEEfEvPKT0_S2_PS0_llll.num_agpr, 0
	.set _ZL21unary_gated_op_kernelIXadL_ZL11op_gelu_erffEEfEvPKT0_S2_PS0_llll.numbered_sgpr, 27
	.set _ZL21unary_gated_op_kernelIXadL_ZL11op_gelu_erffEEfEvPKT0_S2_PS0_llll.num_named_barrier, 0
	.set _ZL21unary_gated_op_kernelIXadL_ZL11op_gelu_erffEEfEvPKT0_S2_PS0_llll.private_seg_size, 0
	.set _ZL21unary_gated_op_kernelIXadL_ZL11op_gelu_erffEEfEvPKT0_S2_PS0_llll.uses_vcc, 1
	.set _ZL21unary_gated_op_kernelIXadL_ZL11op_gelu_erffEEfEvPKT0_S2_PS0_llll.uses_flat_scratch, 0
	.set _ZL21unary_gated_op_kernelIXadL_ZL11op_gelu_erffEEfEvPKT0_S2_PS0_llll.has_dyn_sized_stack, 0
	.set _ZL21unary_gated_op_kernelIXadL_ZL11op_gelu_erffEEfEvPKT0_S2_PS0_llll.has_recursion, 0
	.set _ZL21unary_gated_op_kernelIXadL_ZL11op_gelu_erffEEfEvPKT0_S2_PS0_llll.has_indirect_call, 0
	.section	.AMDGPU.csdata,"",@progbits
; Kernel info:
; codeLenInByte = 1392
; TotalNumSgprs: 31
; NumVgprs: 13
; ScratchSize: 0
; MemoryBound: 0
; FloatMode: 240
; IeeeMode: 1
; LDSByteSize: 0 bytes/workgroup (compile time only)
; SGPRBlocks: 3
; VGPRBlocks: 3
; NumSGPRsForWavesPerEU: 31
; NumVGPRsForWavesPerEU: 13
; Occupancy: 10
; WaveLimiterHint : 0
; COMPUTE_PGM_RSRC2:SCRATCH_EN: 0
; COMPUTE_PGM_RSRC2:USER_SGPR: 6
; COMPUTE_PGM_RSRC2:TRAP_HANDLER: 0
; COMPUTE_PGM_RSRC2:TGID_X_EN: 1
; COMPUTE_PGM_RSRC2:TGID_Y_EN: 0
; COMPUTE_PGM_RSRC2:TGID_Z_EN: 0
; COMPUTE_PGM_RSRC2:TIDIG_COMP_CNT: 0
	.section	.text._ZL21unary_gated_op_kernelIXadL_ZL13op_gelu_quickfEE6__halfEvPKT0_S3_PS1_llll,"axG",@progbits,_ZL21unary_gated_op_kernelIXadL_ZL13op_gelu_quickfEE6__halfEvPKT0_S3_PS1_llll,comdat
	.globl	_ZL21unary_gated_op_kernelIXadL_ZL13op_gelu_quickfEE6__halfEvPKT0_S3_PS1_llll ; -- Begin function _ZL21unary_gated_op_kernelIXadL_ZL13op_gelu_quickfEE6__halfEvPKT0_S3_PS1_llll
	.p2align	8
	.type	_ZL21unary_gated_op_kernelIXadL_ZL13op_gelu_quickfEE6__halfEvPKT0_S3_PS1_llll,@function
_ZL21unary_gated_op_kernelIXadL_ZL13op_gelu_quickfEE6__halfEvPKT0_S3_PS1_llll: ; @_ZL21unary_gated_op_kernelIXadL_ZL13op_gelu_quickfEE6__halfEvPKT0_S3_PS1_llll
; %bb.0:
	s_load_dword s0, s[4:5], 0x44
	v_mov_b32_e32 v2, 0
	s_load_dwordx8 s[8:15], s[4:5], 0x0
	v_mov_b32_e32 v1, v2
	v_mov_b32_e32 v3, s6
	s_waitcnt lgkmcnt(0)
	s_and_b32 s0, s0, 0xffff
	v_mad_u64_u32 v[0:1], s[0:1], s0, v3, v[0:1]
	v_cmp_gt_i64_e32 vcc, s[14:15], v[0:1]
	s_and_saveexec_b64 s[0:1], vcc
	s_cbranch_execz .LBB60_8
; %bb.1:
	s_load_dwordx8 s[16:23], s[4:5], 0x20
                                        ; implicit-def: $vgpr4_vgpr5
	s_waitcnt lgkmcnt(0)
	v_or_b32_e32 v3, s17, v1
	v_cmp_ne_u64_e32 vcc, 0, v[2:3]
	s_and_saveexec_b64 s[0:1], vcc
	s_xor_b64 s[2:3], exec, s[0:1]
	s_cbranch_execz .LBB60_3
; %bb.2:
	s_ashr_i32 s4, s17, 31
	s_add_u32 s0, s16, s4
	s_mov_b32 s5, s4
	s_addc_u32 s1, s17, s4
	s_xor_b64 s[6:7], s[0:1], s[4:5]
	v_cvt_f32_u32_e32 v2, s6
	v_cvt_f32_u32_e32 v3, s7
	s_sub_u32 s5, 0, s6
	s_subb_u32 s14, 0, s7
	v_ashrrev_i32_e32 v6, 31, v1
	v_madmk_f32 v2, v3, 0x4f800000, v2
	v_rcp_f32_e32 v2, v2
	v_mul_f32_e32 v2, 0x5f7ffffc, v2
	v_mul_f32_e32 v3, 0x2f800000, v2
	v_trunc_f32_e32 v3, v3
	v_madmk_f32 v2, v3, 0xcf800000, v2
	v_cvt_u32_f32_e32 v3, v3
	v_cvt_u32_f32_e32 v2, v2
	v_readfirstlane_b32 s15, v3
	v_readfirstlane_b32 s0, v2
	s_mul_i32 s1, s5, s15
	s_mul_hi_u32 s23, s5, s0
	s_mul_i32 s22, s14, s0
	s_add_i32 s1, s23, s1
	s_add_i32 s1, s1, s22
	s_mul_i32 s24, s5, s0
	s_mul_i32 s23, s0, s1
	s_mul_hi_u32 s25, s0, s24
	s_mul_hi_u32 s22, s0, s1
	s_add_u32 s23, s25, s23
	s_addc_u32 s22, 0, s22
	s_mul_hi_u32 s26, s15, s24
	s_mul_i32 s24, s15, s24
	s_add_u32 s23, s23, s24
	s_mul_hi_u32 s25, s15, s1
	s_addc_u32 s22, s22, s26
	s_addc_u32 s23, s25, 0
	s_mul_i32 s1, s15, s1
	s_add_u32 s1, s22, s1
	s_addc_u32 s22, 0, s23
	s_add_u32 s23, s0, s1
	s_cselect_b64 s[0:1], -1, 0
	s_cmp_lg_u64 s[0:1], 0
	s_addc_u32 s15, s15, s22
	s_mul_i32 s0, s5, s15
	s_mul_hi_u32 s1, s5, s23
	s_add_i32 s0, s1, s0
	s_mul_i32 s14, s14, s23
	s_add_i32 s0, s0, s14
	s_mul_i32 s5, s5, s23
	s_mul_hi_u32 s14, s15, s5
	s_mul_i32 s22, s15, s5
	s_mul_i32 s25, s23, s0
	s_mul_hi_u32 s5, s23, s5
	s_mul_hi_u32 s24, s23, s0
	s_add_u32 s5, s5, s25
	s_addc_u32 s24, 0, s24
	s_add_u32 s5, s5, s22
	s_mul_hi_u32 s1, s15, s0
	s_addc_u32 s5, s24, s14
	s_addc_u32 s1, s1, 0
	s_mul_i32 s0, s15, s0
	s_add_u32 s0, s5, s0
	s_addc_u32 s5, 0, s1
	s_add_u32 s14, s23, s0
	s_cselect_b64 s[0:1], -1, 0
	s_cmp_lg_u64 s[0:1], 0
	v_add_co_u32_e32 v2, vcc, v0, v6
	s_addc_u32 s5, s15, s5
	v_xor_b32_e32 v7, v2, v6
	v_mad_u64_u32 v[2:3], s[0:1], v7, s5, 0
	v_mul_hi_u32 v5, v7, s14
	v_addc_co_u32_e32 v4, vcc, v1, v6, vcc
	v_xor_b32_e32 v8, v4, v6
	v_add_co_u32_e32 v9, vcc, v5, v2
	v_addc_co_u32_e32 v10, vcc, 0, v3, vcc
	v_mad_u64_u32 v[2:3], s[0:1], v8, s14, 0
	v_mad_u64_u32 v[4:5], s[0:1], v8, s5, 0
	v_add_co_u32_e32 v2, vcc, v9, v2
	v_addc_co_u32_e32 v2, vcc, v10, v3, vcc
	v_addc_co_u32_e32 v3, vcc, 0, v5, vcc
	v_add_co_u32_e32 v4, vcc, v2, v4
	v_addc_co_u32_e32 v5, vcc, 0, v3, vcc
	v_mul_lo_u32 v9, s7, v4
	v_mul_lo_u32 v10, s6, v5
	v_mad_u64_u32 v[2:3], s[0:1], s6, v4, 0
	v_add3_u32 v3, v3, v10, v9
	v_sub_u32_e32 v9, v8, v3
	v_mov_b32_e32 v10, s7
	v_sub_co_u32_e32 v2, vcc, v7, v2
	v_subb_co_u32_e64 v7, s[0:1], v9, v10, vcc
	v_subrev_co_u32_e64 v9, s[0:1], s6, v2
	v_subbrev_co_u32_e64 v7, s[0:1], 0, v7, s[0:1]
	v_cmp_le_u32_e64 s[0:1], s7, v7
	v_cndmask_b32_e64 v10, 0, -1, s[0:1]
	v_cmp_le_u32_e64 s[0:1], s6, v9
	v_cndmask_b32_e64 v9, 0, -1, s[0:1]
	v_cmp_eq_u32_e64 s[0:1], s7, v7
	v_cndmask_b32_e64 v7, v10, v9, s[0:1]
	v_add_co_u32_e64 v9, s[0:1], 2, v4
	v_subb_co_u32_e32 v3, vcc, v8, v3, vcc
	v_addc_co_u32_e64 v10, s[0:1], 0, v5, s[0:1]
	v_cmp_le_u32_e32 vcc, s7, v3
	v_add_co_u32_e64 v11, s[0:1], 1, v4
	v_cndmask_b32_e64 v8, 0, -1, vcc
	v_cmp_le_u32_e32 vcc, s6, v2
	v_addc_co_u32_e64 v12, s[0:1], 0, v5, s[0:1]
	v_cndmask_b32_e64 v2, 0, -1, vcc
	v_cmp_eq_u32_e32 vcc, s7, v3
	v_cmp_ne_u32_e64 s[0:1], 0, v7
	v_cndmask_b32_e32 v2, v8, v2, vcc
	v_cndmask_b32_e64 v7, v12, v10, s[0:1]
	v_cmp_ne_u32_e32 vcc, 0, v2
	v_cndmask_b32_e64 v3, v11, v9, s[0:1]
	v_cndmask_b32_e32 v2, v5, v7, vcc
	v_cndmask_b32_e32 v3, v4, v3, vcc
	v_xor_b32_e32 v5, s4, v6
	v_xor_b32_e32 v3, v3, v5
	;; [unrolled: 1-line block ×3, first 2 shown]
	v_sub_co_u32_e32 v4, vcc, v3, v5
	v_subb_co_u32_e32 v5, vcc, v2, v5, vcc
.LBB60_3:
	s_andn2_saveexec_b64 s[0:1], s[2:3]
	s_cbranch_execz .LBB60_5
; %bb.4:
	v_cvt_f32_u32_e32 v2, s16
	s_sub_i32 s2, 0, s16
	v_rcp_iflag_f32_e32 v2, v2
	v_mul_f32_e32 v2, 0x4f7ffffe, v2
	v_cvt_u32_f32_e32 v2, v2
	v_mul_lo_u32 v3, s2, v2
	v_mul_hi_u32 v3, v2, v3
	v_add_u32_e32 v2, v2, v3
	v_mul_hi_u32 v2, v0, v2
	v_mul_lo_u32 v3, v2, s16
	v_add_u32_e32 v4, 1, v2
	v_sub_u32_e32 v3, v0, v3
	v_subrev_u32_e32 v5, s16, v3
	v_cmp_le_u32_e32 vcc, s16, v3
	v_cndmask_b32_e32 v3, v3, v5, vcc
	v_cndmask_b32_e32 v2, v2, v4, vcc
	v_add_u32_e32 v4, 1, v2
	v_cmp_le_u32_e32 vcc, s16, v3
	v_cndmask_b32_e32 v4, v2, v4, vcc
	v_mov_b32_e32 v5, 0
.LBB60_5:
	s_or_b64 exec, exec, s[0:1]
	v_mul_lo_u32 v6, v5, s16
	v_mul_lo_u32 v7, v4, s17
	v_mad_u64_u32 v[2:3], s[0:1], v4, s16, 0
	s_cmp_eq_u64 s[18:19], s[20:21]
	v_add3_u32 v3, v3, v7, v6
	v_sub_co_u32_e32 v8, vcc, v0, v2
	v_subb_co_u32_e32 v9, vcc, v1, v3, vcc
	v_mad_u64_u32 v[6:7], s[0:1], v4, s18, v[8:9]
	v_mul_lo_u32 v2, v4, s19
	v_mul_lo_u32 v3, v5, s18
	v_add3_u32 v7, v3, v7, v2
	v_mov_b32_e32 v2, v6
	v_mov_b32_e32 v3, v7
	s_cbranch_scc1 .LBB60_7
; %bb.6:
	v_mad_u64_u32 v[2:3], s[0:1], v4, s20, v[8:9]
	v_mul_lo_u32 v4, v4, s21
	v_mul_lo_u32 v5, v5, s20
	v_add3_u32 v3, v5, v3, v4
.LBB60_7:
	v_lshlrev_b64 v[4:5], 1, v[6:7]
	v_mov_b32_e32 v6, s9
	v_add_co_u32_e32 v4, vcc, s8, v4
	v_addc_co_u32_e32 v5, vcc, v6, v5, vcc
	global_load_ushort v4, v[4:5], off
	v_lshlrev_b64 v[2:3], 1, v[2:3]
	v_mov_b32_e32 v5, s11
	v_add_co_u32_e32 v2, vcc, s10, v2
	v_addc_co_u32_e32 v3, vcc, v5, v3, vcc
	global_load_ushort v2, v[2:3], off
	s_mov_b32 s0, 0x3fb8aa3b
	s_mov_b32 s1, 0x42b17218
	v_lshlrev_b64 v[0:1], 1, v[0:1]
	s_waitcnt vmcnt(1)
	v_cvt_f32_f16_e32 v3, v4
	v_mul_f32_e32 v4, 0xbfd9db23, v3
	v_mul_f32_e32 v5, 0x3fb8aa3b, v4
	v_fma_f32 v6, v4, s0, -v5
	v_rndne_f32_e32 v7, v5
	v_fmac_f32_e32 v6, 0x32a5705f, v4
	v_sub_f32_e32 v5, v5, v7
	v_add_f32_e32 v5, v5, v6
	v_cvt_i32_f32_e32 v7, v7
	v_exp_f32_e32 v5, v5
	s_mov_b32 s0, 0xc2ce8ed0
	v_cmp_ngt_f32_e32 vcc, s0, v4
	v_mov_b32_e32 v6, 0x7f800000
	v_ldexp_f32 v5, v5, v7
	v_cndmask_b32_e32 v5, 0, v5, vcc
	v_cmp_nlt_f32_e32 vcc, s1, v4
	v_cndmask_b32_e32 v4, v6, v5, vcc
	v_add_f32_e32 v4, 1.0, v4
	v_div_scale_f32 v5, s[0:1], v4, v4, 1.0
	v_div_scale_f32 v6, vcc, 1.0, v4, 1.0
	v_rcp_f32_e32 v7, v5
	v_fma_f32 v8, -v5, v7, 1.0
	v_fmac_f32_e32 v7, v8, v7
	v_mul_f32_e32 v8, v6, v7
	v_fma_f32 v9, -v5, v8, v6
	v_fmac_f32_e32 v8, v9, v7
	v_fma_f32 v5, -v5, v8, v6
	v_div_fmas_f32 v5, v5, v7, v8
	v_mov_b32_e32 v6, s13
	v_add_co_u32_e32 v0, vcc, s12, v0
	v_addc_co_u32_e32 v1, vcc, v6, v1, vcc
	v_div_fixup_f32 v4, v5, v4, 1.0
	v_mul_f32_e32 v3, v4, v3
	s_waitcnt vmcnt(0)
	v_fma_mixlo_f16 v2, v3, v2, 0 op_sel_hi:[0,1,0]
	global_store_short v[0:1], v2, off
.LBB60_8:
	s_endpgm
	.section	.rodata,"a",@progbits
	.p2align	6, 0x0
	.amdhsa_kernel _ZL21unary_gated_op_kernelIXadL_ZL13op_gelu_quickfEE6__halfEvPKT0_S3_PS1_llll
		.amdhsa_group_segment_fixed_size 0
		.amdhsa_private_segment_fixed_size 0
		.amdhsa_kernarg_size 312
		.amdhsa_user_sgpr_count 6
		.amdhsa_user_sgpr_private_segment_buffer 1
		.amdhsa_user_sgpr_dispatch_ptr 0
		.amdhsa_user_sgpr_queue_ptr 0
		.amdhsa_user_sgpr_kernarg_segment_ptr 1
		.amdhsa_user_sgpr_dispatch_id 0
		.amdhsa_user_sgpr_flat_scratch_init 0
		.amdhsa_user_sgpr_private_segment_size 0
		.amdhsa_uses_dynamic_stack 0
		.amdhsa_system_sgpr_private_segment_wavefront_offset 0
		.amdhsa_system_sgpr_workgroup_id_x 1
		.amdhsa_system_sgpr_workgroup_id_y 0
		.amdhsa_system_sgpr_workgroup_id_z 0
		.amdhsa_system_sgpr_workgroup_info 0
		.amdhsa_system_vgpr_workitem_id 0
		.amdhsa_next_free_vgpr 13
		.amdhsa_next_free_sgpr 27
		.amdhsa_reserve_vcc 1
		.amdhsa_reserve_flat_scratch 0
		.amdhsa_float_round_mode_32 0
		.amdhsa_float_round_mode_16_64 0
		.amdhsa_float_denorm_mode_32 3
		.amdhsa_float_denorm_mode_16_64 3
		.amdhsa_dx10_clamp 1
		.amdhsa_ieee_mode 1
		.amdhsa_fp16_overflow 0
		.amdhsa_exception_fp_ieee_invalid_op 0
		.amdhsa_exception_fp_denorm_src 0
		.amdhsa_exception_fp_ieee_div_zero 0
		.amdhsa_exception_fp_ieee_overflow 0
		.amdhsa_exception_fp_ieee_underflow 0
		.amdhsa_exception_fp_ieee_inexact 0
		.amdhsa_exception_int_div_zero 0
	.end_amdhsa_kernel
	.section	.text._ZL21unary_gated_op_kernelIXadL_ZL13op_gelu_quickfEE6__halfEvPKT0_S3_PS1_llll,"axG",@progbits,_ZL21unary_gated_op_kernelIXadL_ZL13op_gelu_quickfEE6__halfEvPKT0_S3_PS1_llll,comdat
.Lfunc_end60:
	.size	_ZL21unary_gated_op_kernelIXadL_ZL13op_gelu_quickfEE6__halfEvPKT0_S3_PS1_llll, .Lfunc_end60-_ZL21unary_gated_op_kernelIXadL_ZL13op_gelu_quickfEE6__halfEvPKT0_S3_PS1_llll
                                        ; -- End function
	.set _ZL21unary_gated_op_kernelIXadL_ZL13op_gelu_quickfEE6__halfEvPKT0_S3_PS1_llll.num_vgpr, 13
	.set _ZL21unary_gated_op_kernelIXadL_ZL13op_gelu_quickfEE6__halfEvPKT0_S3_PS1_llll.num_agpr, 0
	.set _ZL21unary_gated_op_kernelIXadL_ZL13op_gelu_quickfEE6__halfEvPKT0_S3_PS1_llll.numbered_sgpr, 27
	.set _ZL21unary_gated_op_kernelIXadL_ZL13op_gelu_quickfEE6__halfEvPKT0_S3_PS1_llll.num_named_barrier, 0
	.set _ZL21unary_gated_op_kernelIXadL_ZL13op_gelu_quickfEE6__halfEvPKT0_S3_PS1_llll.private_seg_size, 0
	.set _ZL21unary_gated_op_kernelIXadL_ZL13op_gelu_quickfEE6__halfEvPKT0_S3_PS1_llll.uses_vcc, 1
	.set _ZL21unary_gated_op_kernelIXadL_ZL13op_gelu_quickfEE6__halfEvPKT0_S3_PS1_llll.uses_flat_scratch, 0
	.set _ZL21unary_gated_op_kernelIXadL_ZL13op_gelu_quickfEE6__halfEvPKT0_S3_PS1_llll.has_dyn_sized_stack, 0
	.set _ZL21unary_gated_op_kernelIXadL_ZL13op_gelu_quickfEE6__halfEvPKT0_S3_PS1_llll.has_recursion, 0
	.set _ZL21unary_gated_op_kernelIXadL_ZL13op_gelu_quickfEE6__halfEvPKT0_S3_PS1_llll.has_indirect_call, 0
	.section	.AMDGPU.csdata,"",@progbits
; Kernel info:
; codeLenInByte = 1232
; TotalNumSgprs: 31
; NumVgprs: 13
; ScratchSize: 0
; MemoryBound: 0
; FloatMode: 240
; IeeeMode: 1
; LDSByteSize: 0 bytes/workgroup (compile time only)
; SGPRBlocks: 3
; VGPRBlocks: 3
; NumSGPRsForWavesPerEU: 31
; NumVGPRsForWavesPerEU: 13
; Occupancy: 10
; WaveLimiterHint : 0
; COMPUTE_PGM_RSRC2:SCRATCH_EN: 0
; COMPUTE_PGM_RSRC2:USER_SGPR: 6
; COMPUTE_PGM_RSRC2:TRAP_HANDLER: 0
; COMPUTE_PGM_RSRC2:TGID_X_EN: 1
; COMPUTE_PGM_RSRC2:TGID_Y_EN: 0
; COMPUTE_PGM_RSRC2:TGID_Z_EN: 0
; COMPUTE_PGM_RSRC2:TIDIG_COMP_CNT: 0
	.section	.text._ZL21unary_gated_op_kernelIXadL_ZL13op_gelu_quickfEEfEvPKT0_S2_PS0_llll,"axG",@progbits,_ZL21unary_gated_op_kernelIXadL_ZL13op_gelu_quickfEEfEvPKT0_S2_PS0_llll,comdat
	.globl	_ZL21unary_gated_op_kernelIXadL_ZL13op_gelu_quickfEEfEvPKT0_S2_PS0_llll ; -- Begin function _ZL21unary_gated_op_kernelIXadL_ZL13op_gelu_quickfEEfEvPKT0_S2_PS0_llll
	.p2align	8
	.type	_ZL21unary_gated_op_kernelIXadL_ZL13op_gelu_quickfEEfEvPKT0_S2_PS0_llll,@function
_ZL21unary_gated_op_kernelIXadL_ZL13op_gelu_quickfEEfEvPKT0_S2_PS0_llll: ; @_ZL21unary_gated_op_kernelIXadL_ZL13op_gelu_quickfEEfEvPKT0_S2_PS0_llll
; %bb.0:
	s_load_dword s0, s[4:5], 0x44
	v_mov_b32_e32 v2, 0
	s_load_dwordx8 s[8:15], s[4:5], 0x0
	v_mov_b32_e32 v1, v2
	v_mov_b32_e32 v3, s6
	s_waitcnt lgkmcnt(0)
	s_and_b32 s0, s0, 0xffff
	v_mad_u64_u32 v[0:1], s[0:1], s0, v3, v[0:1]
	v_cmp_gt_i64_e32 vcc, s[14:15], v[0:1]
	s_and_saveexec_b64 s[0:1], vcc
	s_cbranch_execz .LBB61_8
; %bb.1:
	s_load_dwordx8 s[16:23], s[4:5], 0x20
	s_waitcnt lgkmcnt(0)
	v_or_b32_e32 v3, s17, v1
	v_cmp_ne_u64_e32 vcc, 0, v[2:3]
                                        ; implicit-def: $vgpr2_vgpr3
	s_and_saveexec_b64 s[0:1], vcc
	s_xor_b64 s[2:3], exec, s[0:1]
	s_cbranch_execz .LBB61_3
; %bb.2:
	s_ashr_i32 s4, s17, 31
	s_add_u32 s0, s16, s4
	s_mov_b32 s5, s4
	s_addc_u32 s1, s17, s4
	s_xor_b64 s[6:7], s[0:1], s[4:5]
	v_cvt_f32_u32_e32 v2, s6
	v_cvt_f32_u32_e32 v3, s7
	s_sub_u32 s5, 0, s6
	s_subb_u32 s14, 0, s7
	v_ashrrev_i32_e32 v6, 31, v1
	v_madmk_f32 v2, v3, 0x4f800000, v2
	v_rcp_f32_e32 v2, v2
	v_mul_f32_e32 v2, 0x5f7ffffc, v2
	v_mul_f32_e32 v3, 0x2f800000, v2
	v_trunc_f32_e32 v3, v3
	v_madmk_f32 v2, v3, 0xcf800000, v2
	v_cvt_u32_f32_e32 v3, v3
	v_cvt_u32_f32_e32 v2, v2
	v_readfirstlane_b32 s15, v3
	v_readfirstlane_b32 s0, v2
	s_mul_i32 s1, s5, s15
	s_mul_hi_u32 s23, s5, s0
	s_mul_i32 s22, s14, s0
	s_add_i32 s1, s23, s1
	s_add_i32 s1, s1, s22
	s_mul_i32 s24, s5, s0
	s_mul_i32 s23, s0, s1
	s_mul_hi_u32 s25, s0, s24
	s_mul_hi_u32 s22, s0, s1
	s_add_u32 s23, s25, s23
	s_addc_u32 s22, 0, s22
	s_mul_hi_u32 s26, s15, s24
	s_mul_i32 s24, s15, s24
	s_add_u32 s23, s23, s24
	s_mul_hi_u32 s25, s15, s1
	s_addc_u32 s22, s22, s26
	s_addc_u32 s23, s25, 0
	s_mul_i32 s1, s15, s1
	s_add_u32 s1, s22, s1
	s_addc_u32 s22, 0, s23
	s_add_u32 s23, s0, s1
	s_cselect_b64 s[0:1], -1, 0
	s_cmp_lg_u64 s[0:1], 0
	s_addc_u32 s15, s15, s22
	s_mul_i32 s0, s5, s15
	s_mul_hi_u32 s1, s5, s23
	s_add_i32 s0, s1, s0
	s_mul_i32 s14, s14, s23
	s_add_i32 s0, s0, s14
	s_mul_i32 s5, s5, s23
	s_mul_hi_u32 s14, s15, s5
	s_mul_i32 s22, s15, s5
	s_mul_i32 s25, s23, s0
	s_mul_hi_u32 s5, s23, s5
	s_mul_hi_u32 s24, s23, s0
	s_add_u32 s5, s5, s25
	s_addc_u32 s24, 0, s24
	s_add_u32 s5, s5, s22
	s_mul_hi_u32 s1, s15, s0
	s_addc_u32 s5, s24, s14
	s_addc_u32 s1, s1, 0
	s_mul_i32 s0, s15, s0
	s_add_u32 s0, s5, s0
	s_addc_u32 s5, 0, s1
	s_add_u32 s14, s23, s0
	s_cselect_b64 s[0:1], -1, 0
	s_cmp_lg_u64 s[0:1], 0
	v_add_co_u32_e32 v2, vcc, v0, v6
	s_addc_u32 s5, s15, s5
	v_xor_b32_e32 v7, v2, v6
	v_mad_u64_u32 v[2:3], s[0:1], v7, s5, 0
	v_mul_hi_u32 v5, v7, s14
	v_addc_co_u32_e32 v4, vcc, v1, v6, vcc
	v_xor_b32_e32 v8, v4, v6
	v_add_co_u32_e32 v9, vcc, v5, v2
	v_addc_co_u32_e32 v10, vcc, 0, v3, vcc
	v_mad_u64_u32 v[2:3], s[0:1], v8, s14, 0
	v_mad_u64_u32 v[4:5], s[0:1], v8, s5, 0
	v_add_co_u32_e32 v2, vcc, v9, v2
	v_addc_co_u32_e32 v2, vcc, v10, v3, vcc
	v_addc_co_u32_e32 v3, vcc, 0, v5, vcc
	v_add_co_u32_e32 v4, vcc, v2, v4
	v_addc_co_u32_e32 v5, vcc, 0, v3, vcc
	v_mul_lo_u32 v9, s7, v4
	v_mul_lo_u32 v10, s6, v5
	v_mad_u64_u32 v[2:3], s[0:1], s6, v4, 0
	v_add3_u32 v3, v3, v10, v9
	v_sub_u32_e32 v9, v8, v3
	v_mov_b32_e32 v10, s7
	v_sub_co_u32_e32 v2, vcc, v7, v2
	v_subb_co_u32_e64 v7, s[0:1], v9, v10, vcc
	v_subrev_co_u32_e64 v9, s[0:1], s6, v2
	v_subbrev_co_u32_e64 v7, s[0:1], 0, v7, s[0:1]
	v_cmp_le_u32_e64 s[0:1], s7, v7
	v_cndmask_b32_e64 v10, 0, -1, s[0:1]
	v_cmp_le_u32_e64 s[0:1], s6, v9
	v_cndmask_b32_e64 v9, 0, -1, s[0:1]
	v_cmp_eq_u32_e64 s[0:1], s7, v7
	v_cndmask_b32_e64 v7, v10, v9, s[0:1]
	v_add_co_u32_e64 v9, s[0:1], 2, v4
	v_subb_co_u32_e32 v3, vcc, v8, v3, vcc
	v_addc_co_u32_e64 v10, s[0:1], 0, v5, s[0:1]
	v_cmp_le_u32_e32 vcc, s7, v3
	v_add_co_u32_e64 v11, s[0:1], 1, v4
	v_cndmask_b32_e64 v8, 0, -1, vcc
	v_cmp_le_u32_e32 vcc, s6, v2
	v_addc_co_u32_e64 v12, s[0:1], 0, v5, s[0:1]
	v_cndmask_b32_e64 v2, 0, -1, vcc
	v_cmp_eq_u32_e32 vcc, s7, v3
	v_cmp_ne_u32_e64 s[0:1], 0, v7
	v_cndmask_b32_e32 v2, v8, v2, vcc
	v_cndmask_b32_e64 v7, v12, v10, s[0:1]
	v_cmp_ne_u32_e32 vcc, 0, v2
	v_cndmask_b32_e64 v3, v11, v9, s[0:1]
	v_cndmask_b32_e32 v2, v5, v7, vcc
	v_cndmask_b32_e32 v3, v4, v3, vcc
	v_xor_b32_e32 v4, s4, v6
	v_xor_b32_e32 v5, v2, v4
	;; [unrolled: 1-line block ×3, first 2 shown]
	v_sub_co_u32_e32 v2, vcc, v2, v4
	v_subb_co_u32_e32 v3, vcc, v5, v4, vcc
.LBB61_3:
	s_andn2_saveexec_b64 s[0:1], s[2:3]
	s_cbranch_execz .LBB61_5
; %bb.4:
	v_cvt_f32_u32_e32 v2, s16
	s_sub_i32 s2, 0, s16
	v_rcp_iflag_f32_e32 v2, v2
	v_mul_f32_e32 v2, 0x4f7ffffe, v2
	v_cvt_u32_f32_e32 v2, v2
	v_mul_lo_u32 v3, s2, v2
	v_mul_hi_u32 v3, v2, v3
	v_add_u32_e32 v2, v2, v3
	v_mul_hi_u32 v2, v0, v2
	v_mul_lo_u32 v3, v2, s16
	v_add_u32_e32 v4, 1, v2
	v_sub_u32_e32 v3, v0, v3
	v_subrev_u32_e32 v5, s16, v3
	v_cmp_le_u32_e32 vcc, s16, v3
	v_cndmask_b32_e32 v3, v3, v5, vcc
	v_cndmask_b32_e32 v2, v2, v4, vcc
	v_add_u32_e32 v4, 1, v2
	v_cmp_le_u32_e32 vcc, s16, v3
	v_cndmask_b32_e32 v2, v2, v4, vcc
	v_mov_b32_e32 v3, 0
.LBB61_5:
	s_or_b64 exec, exec, s[0:1]
	v_mul_lo_u32 v6, v3, s16
	v_mul_lo_u32 v7, v2, s17
	v_mad_u64_u32 v[4:5], s[0:1], v2, s16, 0
	s_cmp_eq_u64 s[18:19], s[20:21]
	v_add3_u32 v5, v5, v7, v6
	v_sub_co_u32_e32 v8, vcc, v0, v4
	v_subb_co_u32_e32 v9, vcc, v1, v5, vcc
	v_mad_u64_u32 v[6:7], s[0:1], v2, s18, v[8:9]
	v_mul_lo_u32 v4, v2, s19
	v_mul_lo_u32 v5, v3, s18
	v_add3_u32 v7, v5, v7, v4
	v_mov_b32_e32 v4, v6
	v_mov_b32_e32 v5, v7
	s_cbranch_scc1 .LBB61_7
; %bb.6:
	v_mad_u64_u32 v[4:5], s[0:1], v2, s20, v[8:9]
	v_mul_lo_u32 v2, v2, s21
	v_mul_lo_u32 v3, v3, s20
	v_add3_u32 v5, v3, v5, v2
.LBB61_7:
	v_lshlrev_b64 v[2:3], 2, v[6:7]
	v_mov_b32_e32 v6, s9
	v_add_co_u32_e32 v2, vcc, s8, v2
	v_addc_co_u32_e32 v3, vcc, v6, v3, vcc
	global_load_dword v6, v[2:3], off
	v_lshlrev_b64 v[2:3], 2, v[4:5]
	v_mov_b32_e32 v4, s11
	v_add_co_u32_e32 v2, vcc, s10, v2
	v_addc_co_u32_e32 v3, vcc, v4, v3, vcc
	global_load_dword v2, v[2:3], off
	s_mov_b32 s0, 0x3fb8aa3b
	s_mov_b32 s1, 0x42b17218
	v_lshlrev_b64 v[0:1], 2, v[0:1]
	s_waitcnt vmcnt(1)
	v_mul_f32_e32 v3, 0xbfd9db23, v6
	v_mul_f32_e32 v4, 0x3fb8aa3b, v3
	v_fma_f32 v5, v3, s0, -v4
	v_rndne_f32_e32 v7, v4
	v_fmac_f32_e32 v5, 0x32a5705f, v3
	v_sub_f32_e32 v4, v4, v7
	v_add_f32_e32 v4, v4, v5
	v_cvt_i32_f32_e32 v7, v7
	v_exp_f32_e32 v4, v4
	s_mov_b32 s0, 0xc2ce8ed0
	v_cmp_ngt_f32_e32 vcc, s0, v3
	v_mov_b32_e32 v5, 0x7f800000
	v_ldexp_f32 v4, v4, v7
	v_cndmask_b32_e32 v4, 0, v4, vcc
	v_cmp_nlt_f32_e32 vcc, s1, v3
	v_cndmask_b32_e32 v3, v5, v4, vcc
	v_add_f32_e32 v3, 1.0, v3
	v_div_scale_f32 v4, s[0:1], v3, v3, 1.0
	v_div_scale_f32 v5, vcc, 1.0, v3, 1.0
	v_rcp_f32_e32 v7, v4
	v_fma_f32 v8, -v4, v7, 1.0
	v_fmac_f32_e32 v7, v8, v7
	v_mul_f32_e32 v8, v5, v7
	v_fma_f32 v9, -v4, v8, v5
	v_fmac_f32_e32 v8, v9, v7
	v_fma_f32 v4, -v4, v8, v5
	v_div_fmas_f32 v4, v4, v7, v8
	v_mov_b32_e32 v5, s13
	v_add_co_u32_e32 v0, vcc, s12, v0
	v_addc_co_u32_e32 v1, vcc, v5, v1, vcc
	v_div_fixup_f32 v3, v4, v3, 1.0
	v_mul_f32_e32 v3, v6, v3
	s_waitcnt vmcnt(0)
	v_mul_f32_e32 v2, v2, v3
	global_store_dword v[0:1], v2, off
.LBB61_8:
	s_endpgm
	.section	.rodata,"a",@progbits
	.p2align	6, 0x0
	.amdhsa_kernel _ZL21unary_gated_op_kernelIXadL_ZL13op_gelu_quickfEEfEvPKT0_S2_PS0_llll
		.amdhsa_group_segment_fixed_size 0
		.amdhsa_private_segment_fixed_size 0
		.amdhsa_kernarg_size 312
		.amdhsa_user_sgpr_count 6
		.amdhsa_user_sgpr_private_segment_buffer 1
		.amdhsa_user_sgpr_dispatch_ptr 0
		.amdhsa_user_sgpr_queue_ptr 0
		.amdhsa_user_sgpr_kernarg_segment_ptr 1
		.amdhsa_user_sgpr_dispatch_id 0
		.amdhsa_user_sgpr_flat_scratch_init 0
		.amdhsa_user_sgpr_private_segment_size 0
		.amdhsa_uses_dynamic_stack 0
		.amdhsa_system_sgpr_private_segment_wavefront_offset 0
		.amdhsa_system_sgpr_workgroup_id_x 1
		.amdhsa_system_sgpr_workgroup_id_y 0
		.amdhsa_system_sgpr_workgroup_id_z 0
		.amdhsa_system_sgpr_workgroup_info 0
		.amdhsa_system_vgpr_workitem_id 0
		.amdhsa_next_free_vgpr 13
		.amdhsa_next_free_sgpr 27
		.amdhsa_reserve_vcc 1
		.amdhsa_reserve_flat_scratch 0
		.amdhsa_float_round_mode_32 0
		.amdhsa_float_round_mode_16_64 0
		.amdhsa_float_denorm_mode_32 3
		.amdhsa_float_denorm_mode_16_64 3
		.amdhsa_dx10_clamp 1
		.amdhsa_ieee_mode 1
		.amdhsa_fp16_overflow 0
		.amdhsa_exception_fp_ieee_invalid_op 0
		.amdhsa_exception_fp_denorm_src 0
		.amdhsa_exception_fp_ieee_div_zero 0
		.amdhsa_exception_fp_ieee_overflow 0
		.amdhsa_exception_fp_ieee_underflow 0
		.amdhsa_exception_fp_ieee_inexact 0
		.amdhsa_exception_int_div_zero 0
	.end_amdhsa_kernel
	.section	.text._ZL21unary_gated_op_kernelIXadL_ZL13op_gelu_quickfEEfEvPKT0_S2_PS0_llll,"axG",@progbits,_ZL21unary_gated_op_kernelIXadL_ZL13op_gelu_quickfEEfEvPKT0_S2_PS0_llll,comdat
.Lfunc_end61:
	.size	_ZL21unary_gated_op_kernelIXadL_ZL13op_gelu_quickfEEfEvPKT0_S2_PS0_llll, .Lfunc_end61-_ZL21unary_gated_op_kernelIXadL_ZL13op_gelu_quickfEEfEvPKT0_S2_PS0_llll
                                        ; -- End function
	.set _ZL21unary_gated_op_kernelIXadL_ZL13op_gelu_quickfEEfEvPKT0_S2_PS0_llll.num_vgpr, 13
	.set _ZL21unary_gated_op_kernelIXadL_ZL13op_gelu_quickfEEfEvPKT0_S2_PS0_llll.num_agpr, 0
	.set _ZL21unary_gated_op_kernelIXadL_ZL13op_gelu_quickfEEfEvPKT0_S2_PS0_llll.numbered_sgpr, 27
	.set _ZL21unary_gated_op_kernelIXadL_ZL13op_gelu_quickfEEfEvPKT0_S2_PS0_llll.num_named_barrier, 0
	.set _ZL21unary_gated_op_kernelIXadL_ZL13op_gelu_quickfEEfEvPKT0_S2_PS0_llll.private_seg_size, 0
	.set _ZL21unary_gated_op_kernelIXadL_ZL13op_gelu_quickfEEfEvPKT0_S2_PS0_llll.uses_vcc, 1
	.set _ZL21unary_gated_op_kernelIXadL_ZL13op_gelu_quickfEEfEvPKT0_S2_PS0_llll.uses_flat_scratch, 0
	.set _ZL21unary_gated_op_kernelIXadL_ZL13op_gelu_quickfEEfEvPKT0_S2_PS0_llll.has_dyn_sized_stack, 0
	.set _ZL21unary_gated_op_kernelIXadL_ZL13op_gelu_quickfEEfEvPKT0_S2_PS0_llll.has_recursion, 0
	.set _ZL21unary_gated_op_kernelIXadL_ZL13op_gelu_quickfEEfEvPKT0_S2_PS0_llll.has_indirect_call, 0
	.section	.AMDGPU.csdata,"",@progbits
; Kernel info:
; codeLenInByte = 1224
; TotalNumSgprs: 31
; NumVgprs: 13
; ScratchSize: 0
; MemoryBound: 0
; FloatMode: 240
; IeeeMode: 1
; LDSByteSize: 0 bytes/workgroup (compile time only)
; SGPRBlocks: 3
; VGPRBlocks: 3
; NumSGPRsForWavesPerEU: 31
; NumVGPRsForWavesPerEU: 13
; Occupancy: 10
; WaveLimiterHint : 0
; COMPUTE_PGM_RSRC2:SCRATCH_EN: 0
; COMPUTE_PGM_RSRC2:USER_SGPR: 6
; COMPUTE_PGM_RSRC2:TRAP_HANDLER: 0
; COMPUTE_PGM_RSRC2:TGID_X_EN: 1
; COMPUTE_PGM_RSRC2:TGID_Y_EN: 0
; COMPUTE_PGM_RSRC2:TGID_Z_EN: 0
; COMPUTE_PGM_RSRC2:TIDIG_COMP_CNT: 0
	.section	.text._ZL17swiglu_oai_kernelIfEvPKT_S2_PS0_llllff,"axG",@progbits,_ZL17swiglu_oai_kernelIfEvPKT_S2_PS0_llllff,comdat
	.globl	_ZL17swiglu_oai_kernelIfEvPKT_S2_PS0_llllff ; -- Begin function _ZL17swiglu_oai_kernelIfEvPKT_S2_PS0_llllff
	.p2align	8
	.type	_ZL17swiglu_oai_kernelIfEvPKT_S2_PS0_llllff,@function
_ZL17swiglu_oai_kernelIfEvPKT_S2_PS0_llllff: ; @_ZL17swiglu_oai_kernelIfEvPKT_S2_PS0_llllff
; %bb.0:
	s_load_dword s0, s[4:5], 0x4c
	v_mov_b32_e32 v2, 0
	s_load_dwordx8 s[8:15], s[4:5], 0x0
	v_mov_b32_e32 v1, v2
	v_mov_b32_e32 v3, s6
	s_waitcnt lgkmcnt(0)
	s_and_b32 s0, s0, 0xffff
	v_mad_u64_u32 v[0:1], s[0:1], s0, v3, v[0:1]
	v_cmp_gt_i64_e32 vcc, s[14:15], v[0:1]
	s_and_saveexec_b64 s[0:1], vcc
	s_cbranch_execz .LBB62_8
; %bb.1:
	s_load_dwordx8 s[16:23], s[4:5], 0x20
	s_waitcnt lgkmcnt(0)
	v_or_b32_e32 v3, s17, v1
	v_cmp_ne_u64_e32 vcc, 0, v[2:3]
                                        ; implicit-def: $vgpr2_vgpr3
	s_and_saveexec_b64 s[0:1], vcc
	s_xor_b64 s[2:3], exec, s[0:1]
	s_cbranch_execz .LBB62_3
; %bb.2:
	s_ashr_i32 s6, s17, 31
	s_add_u32 s0, s16, s6
	s_mov_b32 s7, s6
	s_addc_u32 s1, s17, s6
	s_xor_b64 s[14:15], s[0:1], s[6:7]
	v_cvt_f32_u32_e32 v2, s14
	v_cvt_f32_u32_e32 v3, s15
	s_sub_u32 s7, 0, s14
	s_subb_u32 s22, 0, s15
	v_ashrrev_i32_e32 v6, 31, v1
	v_madmk_f32 v2, v3, 0x4f800000, v2
	v_rcp_f32_e32 v2, v2
	v_mul_f32_e32 v2, 0x5f7ffffc, v2
	v_mul_f32_e32 v3, 0x2f800000, v2
	v_trunc_f32_e32 v3, v3
	v_madmk_f32 v2, v3, 0xcf800000, v2
	v_cvt_u32_f32_e32 v3, v3
	v_cvt_u32_f32_e32 v2, v2
	v_readfirstlane_b32 s23, v3
	v_readfirstlane_b32 s0, v2
	s_mul_i32 s1, s7, s23
	s_mul_hi_u32 s25, s7, s0
	s_mul_i32 s24, s22, s0
	s_add_i32 s1, s25, s1
	s_add_i32 s1, s1, s24
	s_mul_i32 s26, s7, s0
	s_mul_i32 s25, s0, s1
	s_mul_hi_u32 s27, s0, s26
	s_mul_hi_u32 s24, s0, s1
	s_add_u32 s25, s27, s25
	s_addc_u32 s24, 0, s24
	s_mul_hi_u32 s28, s23, s26
	s_mul_i32 s26, s23, s26
	s_add_u32 s25, s25, s26
	s_mul_hi_u32 s27, s23, s1
	s_addc_u32 s24, s24, s28
	s_addc_u32 s25, s27, 0
	s_mul_i32 s1, s23, s1
	s_add_u32 s1, s24, s1
	s_addc_u32 s24, 0, s25
	s_add_u32 s25, s0, s1
	s_cselect_b64 s[0:1], -1, 0
	s_cmp_lg_u64 s[0:1], 0
	s_addc_u32 s23, s23, s24
	s_mul_i32 s0, s7, s23
	s_mul_hi_u32 s1, s7, s25
	s_add_i32 s0, s1, s0
	s_mul_i32 s22, s22, s25
	s_add_i32 s0, s0, s22
	s_mul_i32 s7, s7, s25
	s_mul_hi_u32 s22, s23, s7
	s_mul_i32 s24, s23, s7
	s_mul_i32 s27, s25, s0
	s_mul_hi_u32 s7, s25, s7
	s_mul_hi_u32 s26, s25, s0
	s_add_u32 s7, s7, s27
	s_addc_u32 s26, 0, s26
	s_add_u32 s7, s7, s24
	s_mul_hi_u32 s1, s23, s0
	s_addc_u32 s7, s26, s22
	s_addc_u32 s1, s1, 0
	s_mul_i32 s0, s23, s0
	s_add_u32 s0, s7, s0
	s_addc_u32 s7, 0, s1
	s_add_u32 s22, s25, s0
	s_cselect_b64 s[0:1], -1, 0
	s_cmp_lg_u64 s[0:1], 0
	v_add_co_u32_e32 v2, vcc, v0, v6
	s_addc_u32 s7, s23, s7
	v_xor_b32_e32 v7, v2, v6
	v_mad_u64_u32 v[2:3], s[0:1], v7, s7, 0
	v_mul_hi_u32 v5, v7, s22
	v_addc_co_u32_e32 v4, vcc, v1, v6, vcc
	v_xor_b32_e32 v8, v4, v6
	v_add_co_u32_e32 v9, vcc, v5, v2
	v_addc_co_u32_e32 v10, vcc, 0, v3, vcc
	v_mad_u64_u32 v[2:3], s[0:1], v8, s22, 0
	v_mad_u64_u32 v[4:5], s[0:1], v8, s7, 0
	v_add_co_u32_e32 v2, vcc, v9, v2
	v_addc_co_u32_e32 v2, vcc, v10, v3, vcc
	v_addc_co_u32_e32 v3, vcc, 0, v5, vcc
	v_add_co_u32_e32 v4, vcc, v2, v4
	v_addc_co_u32_e32 v5, vcc, 0, v3, vcc
	v_mul_lo_u32 v9, s15, v4
	v_mul_lo_u32 v10, s14, v5
	v_mad_u64_u32 v[2:3], s[0:1], s14, v4, 0
	v_add3_u32 v3, v3, v10, v9
	v_sub_u32_e32 v9, v8, v3
	v_mov_b32_e32 v10, s15
	v_sub_co_u32_e32 v2, vcc, v7, v2
	v_subb_co_u32_e64 v7, s[0:1], v9, v10, vcc
	v_subrev_co_u32_e64 v9, s[0:1], s14, v2
	v_subbrev_co_u32_e64 v7, s[0:1], 0, v7, s[0:1]
	v_cmp_le_u32_e64 s[0:1], s15, v7
	v_cndmask_b32_e64 v10, 0, -1, s[0:1]
	v_cmp_le_u32_e64 s[0:1], s14, v9
	v_cndmask_b32_e64 v9, 0, -1, s[0:1]
	v_cmp_eq_u32_e64 s[0:1], s15, v7
	v_cndmask_b32_e64 v7, v10, v9, s[0:1]
	v_add_co_u32_e64 v9, s[0:1], 2, v4
	v_subb_co_u32_e32 v3, vcc, v8, v3, vcc
	v_addc_co_u32_e64 v10, s[0:1], 0, v5, s[0:1]
	v_cmp_le_u32_e32 vcc, s15, v3
	v_add_co_u32_e64 v11, s[0:1], 1, v4
	v_cndmask_b32_e64 v8, 0, -1, vcc
	v_cmp_le_u32_e32 vcc, s14, v2
	v_addc_co_u32_e64 v12, s[0:1], 0, v5, s[0:1]
	v_cndmask_b32_e64 v2, 0, -1, vcc
	v_cmp_eq_u32_e32 vcc, s15, v3
	v_cmp_ne_u32_e64 s[0:1], 0, v7
	v_cndmask_b32_e32 v2, v8, v2, vcc
	v_cndmask_b32_e64 v7, v12, v10, s[0:1]
	v_cmp_ne_u32_e32 vcc, 0, v2
	v_cndmask_b32_e64 v3, v11, v9, s[0:1]
	v_cndmask_b32_e32 v2, v5, v7, vcc
	v_cndmask_b32_e32 v3, v4, v3, vcc
	v_xor_b32_e32 v4, s6, v6
	v_xor_b32_e32 v5, v2, v4
	;; [unrolled: 1-line block ×3, first 2 shown]
	v_sub_co_u32_e32 v2, vcc, v2, v4
	v_subb_co_u32_e32 v3, vcc, v5, v4, vcc
.LBB62_3:
	s_andn2_saveexec_b64 s[0:1], s[2:3]
	s_cbranch_execz .LBB62_5
; %bb.4:
	v_cvt_f32_u32_e32 v2, s16
	s_sub_i32 s2, 0, s16
	v_rcp_iflag_f32_e32 v2, v2
	v_mul_f32_e32 v2, 0x4f7ffffe, v2
	v_cvt_u32_f32_e32 v2, v2
	v_mul_lo_u32 v3, s2, v2
	v_mul_hi_u32 v3, v2, v3
	v_add_u32_e32 v2, v2, v3
	v_mul_hi_u32 v2, v0, v2
	v_mul_lo_u32 v3, v2, s16
	v_add_u32_e32 v4, 1, v2
	v_sub_u32_e32 v3, v0, v3
	v_subrev_u32_e32 v5, s16, v3
	v_cmp_le_u32_e32 vcc, s16, v3
	v_cndmask_b32_e32 v3, v3, v5, vcc
	v_cndmask_b32_e32 v2, v2, v4, vcc
	v_add_u32_e32 v4, 1, v2
	v_cmp_le_u32_e32 vcc, s16, v3
	v_cndmask_b32_e32 v2, v2, v4, vcc
	v_mov_b32_e32 v3, 0
.LBB62_5:
	s_or_b64 exec, exec, s[0:1]
	v_mul_lo_u32 v6, v3, s16
	v_mul_lo_u32 v7, v2, s17
	v_mad_u64_u32 v[4:5], s[0:1], v2, s16, 0
	s_cmp_eq_u64 s[18:19], s[20:21]
	v_add3_u32 v5, v5, v7, v6
	v_sub_co_u32_e32 v8, vcc, v0, v4
	v_subb_co_u32_e32 v9, vcc, v1, v5, vcc
	v_mad_u64_u32 v[4:5], s[0:1], v2, s18, v[8:9]
	v_mul_lo_u32 v6, v2, s19
	v_mul_lo_u32 v7, v3, s18
	v_add3_u32 v5, v7, v5, v6
	v_mov_b32_e32 v7, v5
	v_mov_b32_e32 v6, v4
	s_cbranch_scc1 .LBB62_7
; %bb.6:
	v_mad_u64_u32 v[6:7], s[0:1], v2, s20, v[8:9]
	v_mul_lo_u32 v2, v2, s21
	v_mul_lo_u32 v3, v3, s20
	v_add3_u32 v7, v3, v7, v2
.LBB62_7:
	v_lshlrev_b64 v[2:3], 2, v[4:5]
	v_mov_b32_e32 v4, s9
	v_add_co_u32_e32 v2, vcc, s8, v2
	v_addc_co_u32_e32 v3, vcc, v4, v3, vcc
	global_load_dword v4, v[2:3], off
	v_lshlrev_b64 v[2:3], 2, v[6:7]
	v_mov_b32_e32 v5, s11
	v_add_co_u32_e32 v2, vcc, s10, v2
	v_addc_co_u32_e32 v3, vcc, v5, v3, vcc
	global_load_dword v2, v[2:3], off
	s_load_dwordx2 s[0:1], s[4:5], 0x38
	s_mov_b32 s2, 0x3fb8aa3b
	v_lshlrev_b64 v[0:1], 2, v[0:1]
	s_waitcnt lgkmcnt(0)
	v_max_f32_e64 v3, s1, s1
	s_waitcnt vmcnt(1)
	v_max_f32_e32 v4, v4, v4
	v_min_f32_e32 v4, v4, v3
	v_mul_f32_e64 v5, s0, -v4
	v_mul_f32_e32 v6, 0x3fb8aa3b, v5
	v_fma_f32 v7, v5, s2, -v6
	v_rndne_f32_e32 v8, v6
	v_fmac_f32_e32 v7, 0x32a5705f, v5
	v_sub_f32_e32 v6, v6, v8
	v_add_f32_e32 v6, v6, v7
	v_cvt_i32_f32_e32 v8, v8
	v_exp_f32_e32 v6, v6
	s_mov_b32 s0, 0xc2ce8ed0
	s_mov_b32 s2, 0x42b17218
	v_cmp_ngt_f32_e32 vcc, s0, v5
	v_ldexp_f32 v6, v6, v8
	v_mov_b32_e32 v7, 0x7f800000
	v_cndmask_b32_e32 v6, 0, v6, vcc
	v_cmp_nlt_f32_e32 vcc, s2, v5
	v_cndmask_b32_e32 v5, v7, v6, vcc
	v_add_f32_e32 v5, 1.0, v5
	v_div_scale_f32 v6, s[2:3], v5, v5, v4
	v_div_scale_f32 v7, vcc, v4, v5, v4
	s_waitcnt vmcnt(0)
	v_max_f32_e32 v2, v2, v2
	v_min_f32_e32 v2, v2, v3
	v_rcp_f32_e32 v8, v6
	v_fma_f32 v9, -v6, v8, 1.0
	v_fmac_f32_e32 v8, v9, v8
	v_mul_f32_e32 v9, v7, v8
	v_fma_f32 v10, -v6, v9, v7
	v_fmac_f32_e32 v9, v10, v8
	v_fma_f32 v6, -v6, v9, v7
	v_div_fmas_f32 v6, v6, v8, v9
	v_max_f32_e64 v8, -s1, -s1
	v_max_f32_e32 v2, v2, v8
	v_mov_b32_e32 v7, s13
	v_add_f32_e32 v2, 1.0, v2
	v_add_co_u32_e32 v0, vcc, s12, v0
	v_addc_co_u32_e32 v1, vcc, v7, v1, vcc
	v_div_fixup_f32 v3, v6, v5, v4
	v_mul_f32_e32 v2, v2, v3
	global_store_dword v[0:1], v2, off
.LBB62_8:
	s_endpgm
	.section	.rodata,"a",@progbits
	.p2align	6, 0x0
	.amdhsa_kernel _ZL17swiglu_oai_kernelIfEvPKT_S2_PS0_llllff
		.amdhsa_group_segment_fixed_size 0
		.amdhsa_private_segment_fixed_size 0
		.amdhsa_kernarg_size 320
		.amdhsa_user_sgpr_count 6
		.amdhsa_user_sgpr_private_segment_buffer 1
		.amdhsa_user_sgpr_dispatch_ptr 0
		.amdhsa_user_sgpr_queue_ptr 0
		.amdhsa_user_sgpr_kernarg_segment_ptr 1
		.amdhsa_user_sgpr_dispatch_id 0
		.amdhsa_user_sgpr_flat_scratch_init 0
		.amdhsa_user_sgpr_private_segment_size 0
		.amdhsa_uses_dynamic_stack 0
		.amdhsa_system_sgpr_private_segment_wavefront_offset 0
		.amdhsa_system_sgpr_workgroup_id_x 1
		.amdhsa_system_sgpr_workgroup_id_y 0
		.amdhsa_system_sgpr_workgroup_id_z 0
		.amdhsa_system_sgpr_workgroup_info 0
		.amdhsa_system_vgpr_workitem_id 0
		.amdhsa_next_free_vgpr 13
		.amdhsa_next_free_sgpr 29
		.amdhsa_reserve_vcc 1
		.amdhsa_reserve_flat_scratch 0
		.amdhsa_float_round_mode_32 0
		.amdhsa_float_round_mode_16_64 0
		.amdhsa_float_denorm_mode_32 3
		.amdhsa_float_denorm_mode_16_64 3
		.amdhsa_dx10_clamp 1
		.amdhsa_ieee_mode 1
		.amdhsa_fp16_overflow 0
		.amdhsa_exception_fp_ieee_invalid_op 0
		.amdhsa_exception_fp_denorm_src 0
		.amdhsa_exception_fp_ieee_div_zero 0
		.amdhsa_exception_fp_ieee_overflow 0
		.amdhsa_exception_fp_ieee_underflow 0
		.amdhsa_exception_fp_ieee_inexact 0
		.amdhsa_exception_int_div_zero 0
	.end_amdhsa_kernel
	.section	.text._ZL17swiglu_oai_kernelIfEvPKT_S2_PS0_llllff,"axG",@progbits,_ZL17swiglu_oai_kernelIfEvPKT_S2_PS0_llllff,comdat
.Lfunc_end62:
	.size	_ZL17swiglu_oai_kernelIfEvPKT_S2_PS0_llllff, .Lfunc_end62-_ZL17swiglu_oai_kernelIfEvPKT_S2_PS0_llllff
                                        ; -- End function
	.set _ZL17swiglu_oai_kernelIfEvPKT_S2_PS0_llllff.num_vgpr, 13
	.set _ZL17swiglu_oai_kernelIfEvPKT_S2_PS0_llllff.num_agpr, 0
	.set _ZL17swiglu_oai_kernelIfEvPKT_S2_PS0_llllff.numbered_sgpr, 29
	.set _ZL17swiglu_oai_kernelIfEvPKT_S2_PS0_llllff.num_named_barrier, 0
	.set _ZL17swiglu_oai_kernelIfEvPKT_S2_PS0_llllff.private_seg_size, 0
	.set _ZL17swiglu_oai_kernelIfEvPKT_S2_PS0_llllff.uses_vcc, 1
	.set _ZL17swiglu_oai_kernelIfEvPKT_S2_PS0_llllff.uses_flat_scratch, 0
	.set _ZL17swiglu_oai_kernelIfEvPKT_S2_PS0_llllff.has_dyn_sized_stack, 0
	.set _ZL17swiglu_oai_kernelIfEvPKT_S2_PS0_llllff.has_recursion, 0
	.set _ZL17swiglu_oai_kernelIfEvPKT_S2_PS0_llllff.has_indirect_call, 0
	.section	.AMDGPU.csdata,"",@progbits
; Kernel info:
; codeLenInByte = 1272
; TotalNumSgprs: 33
; NumVgprs: 13
; ScratchSize: 0
; MemoryBound: 0
; FloatMode: 240
; IeeeMode: 1
; LDSByteSize: 0 bytes/workgroup (compile time only)
; SGPRBlocks: 4
; VGPRBlocks: 3
; NumSGPRsForWavesPerEU: 33
; NumVGPRsForWavesPerEU: 13
; Occupancy: 10
; WaveLimiterHint : 0
; COMPUTE_PGM_RSRC2:SCRATCH_EN: 0
; COMPUTE_PGM_RSRC2:USER_SGPR: 6
; COMPUTE_PGM_RSRC2:TRAP_HANDLER: 0
; COMPUTE_PGM_RSRC2:TGID_X_EN: 1
; COMPUTE_PGM_RSRC2:TGID_Y_EN: 0
; COMPUTE_PGM_RSRC2:TGID_Z_EN: 0
; COMPUTE_PGM_RSRC2:TIDIG_COMP_CNT: 0
	.section	.text._ZL12xielu_kernelI6__halfEvPKT_PS1_iffff,"axG",@progbits,_ZL12xielu_kernelI6__halfEvPKT_PS1_iffff,comdat
	.globl	_ZL12xielu_kernelI6__halfEvPKT_PS1_iffff ; -- Begin function _ZL12xielu_kernelI6__halfEvPKT_PS1_iffff
	.p2align	8
	.type	_ZL12xielu_kernelI6__halfEvPKT_PS1_iffff,@function
_ZL12xielu_kernelI6__halfEvPKT_PS1_iffff: ; @_ZL12xielu_kernelI6__halfEvPKT_PS1_iffff
; %bb.0:
	s_load_dword s7, s[4:5], 0x34
	s_load_dwordx4 s[0:3], s[4:5], 0x10
	s_waitcnt lgkmcnt(0)
	s_and_b32 s7, s7, 0xffff
	s_mul_i32 s6, s6, s7
	v_add_u32_e32 v0, s6, v0
	v_cmp_gt_i32_e32 vcc, s0, v0
	s_and_saveexec_b64 s[6:7], vcc
	s_cbranch_execz .LBB63_2
; %bb.1:
	s_load_dwordx4 s[8:11], s[4:5], 0x0
	s_load_dword s0, s[4:5], 0x20
	v_ashrrev_i32_e32 v1, 31, v0
	v_lshlrev_b64 v[0:1], 1, v[0:1]
	v_mov_b32_e32 v4, 0x3c0887f9
	s_waitcnt lgkmcnt(0)
	v_mov_b32_e32 v3, s9
	v_add_co_u32_e32 v2, vcc, s8, v0
	v_addc_co_u32_e32 v3, vcc, v3, v1, vcc
	global_load_ushort v2, v[2:3], off
	v_max_f32_e64 v9, s0, s0
	v_mov_b32_e32 v3, 0x3ab69700
	v_mov_b32_e32 v5, 0x3d2aaa81
	;; [unrolled: 1-line block ×3, first 2 shown]
	s_mov_b32 s4, 0x43000000
	v_mov_b32_e32 v7, 0x7f000000
	s_mov_b32 s5, 0x42b17217
	v_mov_b32_e32 v8, 0x7f800000
	;; [unrolled: 2-line block ×3, first 2 shown]
	s_waitcnt vmcnt(0)
	v_cvt_f32_f16_e32 v11, v2
	v_cmp_lt_f16_e32 vcc, 0, v2
	v_cndmask_b32_e64 v12, 0, 1.0, vcc
	v_sub_f32_e32 v13, 1.0, v12
	v_mul_f32_e32 v14, s2, v11
	v_mul_f32_e32 v15, s3, v11
	v_min_f32_e32 v9, v11, v9
	v_fma_mix_f32 v2, v14, v2, v15 op_sel_hi:[0,1,0]
	v_mul_f32_e32 v14, 0x3fb8aa3b, v9
	v_mov_b32_e32 v16, v9
	v_rndne_f32_e32 v14, v14
	v_fmac_f32_e32 v16, 0xbf317218, v14
	v_fmac_f32_e32 v16, 0x3102e308, v14
	v_cvt_i32_f32_e32 v17, v14
	v_fmac_f32_e32 v3, 0x395133b1, v16
	v_fmac_f32_e32 v4, v16, v3
	;; [unrolled: 1-line block ×4, first 2 shown]
	v_ldexp_f32 v3, 1.0, v17
	v_cmp_eq_f32_e32 vcc, s4, v14
	v_fma_f32 v4, v16, v6, 0.5
	v_cndmask_b32_e32 v3, v3, v7, vcc
	v_mul_f32_e32 v4, v16, v4
	v_add_f32_e32 v5, -1.0, v3
	v_fmac_f32_e32 v16, v16, v4
	v_fmac_f32_e32 v5, v3, v16
	v_add_f32_e32 v3, v5, v5
	v_cndmask_b32_e32 v3, v5, v3, vcc
	v_cmp_nlt_f32_e32 vcc, s5, v9
	v_cndmask_b32_e32 v3, v8, v3, vcc
	v_cmp_ngt_f32_e32 vcc, s6, v9
	v_cndmask_b32_e32 v3, -1.0, v3, vcc
	v_sub_f32_e32 v3, v3, v11
	v_fmac_f32_e32 v15, s1, v3
	v_mul_f32_e32 v3, v13, v15
	v_add_co_u32_e32 v0, vcc, s10, v0
	v_fma_mixlo_f16 v2, v2, v12, v3
	v_addc_co_u32_e32 v1, vcc, v10, v1, vcc
	global_store_short v[0:1], v2, off
.LBB63_2:
	s_endpgm
	.section	.rodata,"a",@progbits
	.p2align	6, 0x0
	.amdhsa_kernel _ZL12xielu_kernelI6__halfEvPKT_PS1_iffff
		.amdhsa_group_segment_fixed_size 0
		.amdhsa_private_segment_fixed_size 0
		.amdhsa_kernarg_size 296
		.amdhsa_user_sgpr_count 6
		.amdhsa_user_sgpr_private_segment_buffer 1
		.amdhsa_user_sgpr_dispatch_ptr 0
		.amdhsa_user_sgpr_queue_ptr 0
		.amdhsa_user_sgpr_kernarg_segment_ptr 1
		.amdhsa_user_sgpr_dispatch_id 0
		.amdhsa_user_sgpr_flat_scratch_init 0
		.amdhsa_user_sgpr_private_segment_size 0
		.amdhsa_uses_dynamic_stack 0
		.amdhsa_system_sgpr_private_segment_wavefront_offset 0
		.amdhsa_system_sgpr_workgroup_id_x 1
		.amdhsa_system_sgpr_workgroup_id_y 0
		.amdhsa_system_sgpr_workgroup_id_z 0
		.amdhsa_system_sgpr_workgroup_info 0
		.amdhsa_system_vgpr_workitem_id 0
		.amdhsa_next_free_vgpr 18
		.amdhsa_next_free_sgpr 12
		.amdhsa_reserve_vcc 1
		.amdhsa_reserve_flat_scratch 0
		.amdhsa_float_round_mode_32 0
		.amdhsa_float_round_mode_16_64 0
		.amdhsa_float_denorm_mode_32 3
		.amdhsa_float_denorm_mode_16_64 3
		.amdhsa_dx10_clamp 1
		.amdhsa_ieee_mode 1
		.amdhsa_fp16_overflow 0
		.amdhsa_exception_fp_ieee_invalid_op 0
		.amdhsa_exception_fp_denorm_src 0
		.amdhsa_exception_fp_ieee_div_zero 0
		.amdhsa_exception_fp_ieee_overflow 0
		.amdhsa_exception_fp_ieee_underflow 0
		.amdhsa_exception_fp_ieee_inexact 0
		.amdhsa_exception_int_div_zero 0
	.end_amdhsa_kernel
	.section	.text._ZL12xielu_kernelI6__halfEvPKT_PS1_iffff,"axG",@progbits,_ZL12xielu_kernelI6__halfEvPKT_PS1_iffff,comdat
.Lfunc_end63:
	.size	_ZL12xielu_kernelI6__halfEvPKT_PS1_iffff, .Lfunc_end63-_ZL12xielu_kernelI6__halfEvPKT_PS1_iffff
                                        ; -- End function
	.set _ZL12xielu_kernelI6__halfEvPKT_PS1_iffff.num_vgpr, 18
	.set _ZL12xielu_kernelI6__halfEvPKT_PS1_iffff.num_agpr, 0
	.set _ZL12xielu_kernelI6__halfEvPKT_PS1_iffff.numbered_sgpr, 12
	.set _ZL12xielu_kernelI6__halfEvPKT_PS1_iffff.num_named_barrier, 0
	.set _ZL12xielu_kernelI6__halfEvPKT_PS1_iffff.private_seg_size, 0
	.set _ZL12xielu_kernelI6__halfEvPKT_PS1_iffff.uses_vcc, 1
	.set _ZL12xielu_kernelI6__halfEvPKT_PS1_iffff.uses_flat_scratch, 0
	.set _ZL12xielu_kernelI6__halfEvPKT_PS1_iffff.has_dyn_sized_stack, 0
	.set _ZL12xielu_kernelI6__halfEvPKT_PS1_iffff.has_recursion, 0
	.set _ZL12xielu_kernelI6__halfEvPKT_PS1_iffff.has_indirect_call, 0
	.section	.AMDGPU.csdata,"",@progbits
; Kernel info:
; codeLenInByte = 388
; TotalNumSgprs: 16
; NumVgprs: 18
; ScratchSize: 0
; MemoryBound: 0
; FloatMode: 240
; IeeeMode: 1
; LDSByteSize: 0 bytes/workgroup (compile time only)
; SGPRBlocks: 1
; VGPRBlocks: 4
; NumSGPRsForWavesPerEU: 16
; NumVGPRsForWavesPerEU: 18
; Occupancy: 10
; WaveLimiterHint : 0
; COMPUTE_PGM_RSRC2:SCRATCH_EN: 0
; COMPUTE_PGM_RSRC2:USER_SGPR: 6
; COMPUTE_PGM_RSRC2:TRAP_HANDLER: 0
; COMPUTE_PGM_RSRC2:TGID_X_EN: 1
; COMPUTE_PGM_RSRC2:TGID_Y_EN: 0
; COMPUTE_PGM_RSRC2:TGID_Z_EN: 0
; COMPUTE_PGM_RSRC2:TIDIG_COMP_CNT: 0
	.section	.text._ZL12xielu_kernelIfEvPKT_PS0_iffff,"axG",@progbits,_ZL12xielu_kernelIfEvPKT_PS0_iffff,comdat
	.globl	_ZL12xielu_kernelIfEvPKT_PS0_iffff ; -- Begin function _ZL12xielu_kernelIfEvPKT_PS0_iffff
	.p2align	8
	.type	_ZL12xielu_kernelIfEvPKT_PS0_iffff,@function
_ZL12xielu_kernelIfEvPKT_PS0_iffff:     ; @_ZL12xielu_kernelIfEvPKT_PS0_iffff
; %bb.0:
	s_load_dword s7, s[4:5], 0x34
	s_load_dwordx4 s[0:3], s[4:5], 0x10
	s_waitcnt lgkmcnt(0)
	s_and_b32 s7, s7, 0xffff
	s_mul_i32 s6, s6, s7
	v_add_u32_e32 v0, s6, v0
	v_cmp_gt_i32_e32 vcc, s0, v0
	s_and_saveexec_b64 s[6:7], vcc
	s_cbranch_execz .LBB64_2
; %bb.1:
	s_load_dwordx4 s[8:11], s[4:5], 0x0
	s_load_dword s0, s[4:5], 0x20
	v_ashrrev_i32_e32 v1, 31, v0
	v_lshlrev_b64 v[0:1], 2, v[0:1]
	v_mov_b32_e32 v4, 0x3c0887f9
	s_waitcnt lgkmcnt(0)
	v_mov_b32_e32 v3, s9
	v_add_co_u32_e32 v2, vcc, s8, v0
	v_addc_co_u32_e32 v3, vcc, v3, v1, vcc
	global_load_dword v2, v[2:3], off
	v_max_f32_e64 v9, s0, s0
	v_mov_b32_e32 v3, 0x3ab69700
	v_mov_b32_e32 v5, 0x3d2aaa81
	;; [unrolled: 1-line block ×3, first 2 shown]
	s_mov_b32 s4, 0x43000000
	v_mov_b32_e32 v7, 0x7f000000
	s_mov_b32 s5, 0x42b17217
	v_mov_b32_e32 v8, 0x7f800000
	;; [unrolled: 2-line block ×3, first 2 shown]
	s_waitcnt vmcnt(0)
	v_max_f32_e32 v14, v2, v2
	v_min_f32_e32 v9, v14, v9
	v_mul_f32_e32 v15, 0x3fb8aa3b, v9
	v_mov_b32_e32 v16, v9
	v_rndne_f32_e32 v15, v15
	v_fmac_f32_e32 v16, 0xbf317218, v15
	v_fmac_f32_e32 v16, 0x3102e308, v15
	v_cvt_i32_f32_e32 v17, v15
	v_fmac_f32_e32 v3, 0x395133b1, v16
	v_fmac_f32_e32 v4, v16, v3
	;; [unrolled: 1-line block ×3, first 2 shown]
	v_cmp_lt_f32_e32 vcc, 0, v2
	v_fmac_f32_e32 v6, v16, v5
	v_cndmask_b32_e64 v11, 0, 1.0, vcc
	v_ldexp_f32 v3, 1.0, v17
	v_cmp_eq_f32_e32 vcc, s4, v15
	v_fma_f32 v4, v16, v6, 0.5
	v_cndmask_b32_e32 v3, v3, v7, vcc
	v_mul_f32_e32 v4, v16, v4
	v_add_f32_e32 v5, -1.0, v3
	v_fmac_f32_e32 v16, v16, v4
	v_fmac_f32_e32 v5, v3, v16
	v_add_f32_e32 v3, v5, v5
	v_cndmask_b32_e32 v3, v5, v3, vcc
	v_cmp_nlt_f32_e32 vcc, s5, v9
	v_cndmask_b32_e32 v3, v8, v3, vcc
	v_cmp_ngt_f32_e32 vcc, s6, v9
	v_mul_f32_e32 v12, s2, v2
	v_mul_f32_e32 v13, s3, v2
	v_cndmask_b32_e32 v3, -1.0, v3, vcc
	v_fma_f32 v12, v2, v12, v13
	v_sub_f32_e32 v2, v3, v2
	v_sub_f32_e32 v14, 1.0, v11
	v_fmac_f32_e32 v13, s1, v2
	v_mul_f32_e32 v2, v14, v13
	v_add_co_u32_e32 v0, vcc, s10, v0
	v_fmac_f32_e32 v2, v12, v11
	v_addc_co_u32_e32 v1, vcc, v10, v1, vcc
	global_store_dword v[0:1], v2, off
.LBB64_2:
	s_endpgm
	.section	.rodata,"a",@progbits
	.p2align	6, 0x0
	.amdhsa_kernel _ZL12xielu_kernelIfEvPKT_PS0_iffff
		.amdhsa_group_segment_fixed_size 0
		.amdhsa_private_segment_fixed_size 0
		.amdhsa_kernarg_size 296
		.amdhsa_user_sgpr_count 6
		.amdhsa_user_sgpr_private_segment_buffer 1
		.amdhsa_user_sgpr_dispatch_ptr 0
		.amdhsa_user_sgpr_queue_ptr 0
		.amdhsa_user_sgpr_kernarg_segment_ptr 1
		.amdhsa_user_sgpr_dispatch_id 0
		.amdhsa_user_sgpr_flat_scratch_init 0
		.amdhsa_user_sgpr_private_segment_size 0
		.amdhsa_uses_dynamic_stack 0
		.amdhsa_system_sgpr_private_segment_wavefront_offset 0
		.amdhsa_system_sgpr_workgroup_id_x 1
		.amdhsa_system_sgpr_workgroup_id_y 0
		.amdhsa_system_sgpr_workgroup_id_z 0
		.amdhsa_system_sgpr_workgroup_info 0
		.amdhsa_system_vgpr_workitem_id 0
		.amdhsa_next_free_vgpr 18
		.amdhsa_next_free_sgpr 12
		.amdhsa_reserve_vcc 1
		.amdhsa_reserve_flat_scratch 0
		.amdhsa_float_round_mode_32 0
		.amdhsa_float_round_mode_16_64 0
		.amdhsa_float_denorm_mode_32 3
		.amdhsa_float_denorm_mode_16_64 3
		.amdhsa_dx10_clamp 1
		.amdhsa_ieee_mode 1
		.amdhsa_fp16_overflow 0
		.amdhsa_exception_fp_ieee_invalid_op 0
		.amdhsa_exception_fp_denorm_src 0
		.amdhsa_exception_fp_ieee_div_zero 0
		.amdhsa_exception_fp_ieee_overflow 0
		.amdhsa_exception_fp_ieee_underflow 0
		.amdhsa_exception_fp_ieee_inexact 0
		.amdhsa_exception_int_div_zero 0
	.end_amdhsa_kernel
	.section	.text._ZL12xielu_kernelIfEvPKT_PS0_iffff,"axG",@progbits,_ZL12xielu_kernelIfEvPKT_PS0_iffff,comdat
.Lfunc_end64:
	.size	_ZL12xielu_kernelIfEvPKT_PS0_iffff, .Lfunc_end64-_ZL12xielu_kernelIfEvPKT_PS0_iffff
                                        ; -- End function
	.set _ZL12xielu_kernelIfEvPKT_PS0_iffff.num_vgpr, 18
	.set _ZL12xielu_kernelIfEvPKT_PS0_iffff.num_agpr, 0
	.set _ZL12xielu_kernelIfEvPKT_PS0_iffff.numbered_sgpr, 12
	.set _ZL12xielu_kernelIfEvPKT_PS0_iffff.num_named_barrier, 0
	.set _ZL12xielu_kernelIfEvPKT_PS0_iffff.private_seg_size, 0
	.set _ZL12xielu_kernelIfEvPKT_PS0_iffff.uses_vcc, 1
	.set _ZL12xielu_kernelIfEvPKT_PS0_iffff.uses_flat_scratch, 0
	.set _ZL12xielu_kernelIfEvPKT_PS0_iffff.has_dyn_sized_stack, 0
	.set _ZL12xielu_kernelIfEvPKT_PS0_iffff.has_recursion, 0
	.set _ZL12xielu_kernelIfEvPKT_PS0_iffff.has_indirect_call, 0
	.section	.AMDGPU.csdata,"",@progbits
; Kernel info:
; codeLenInByte = 384
; TotalNumSgprs: 16
; NumVgprs: 18
; ScratchSize: 0
; MemoryBound: 0
; FloatMode: 240
; IeeeMode: 1
; LDSByteSize: 0 bytes/workgroup (compile time only)
; SGPRBlocks: 1
; VGPRBlocks: 4
; NumSGPRsForWavesPerEU: 16
; NumVGPRsForWavesPerEU: 18
; Occupancy: 10
; WaveLimiterHint : 0
; COMPUTE_PGM_RSRC2:SCRATCH_EN: 0
; COMPUTE_PGM_RSRC2:USER_SGPR: 6
; COMPUTE_PGM_RSRC2:TRAP_HANDLER: 0
; COMPUTE_PGM_RSRC2:TGID_X_EN: 1
; COMPUTE_PGM_RSRC2:TGID_Y_EN: 0
; COMPUTE_PGM_RSRC2:TGID_Z_EN: 0
; COMPUTE_PGM_RSRC2:TIDIG_COMP_CNT: 0
	.section	.text._ZL16silu_back_kernelI6__halfEvPKT_S3_PS1_i,"axG",@progbits,_ZL16silu_back_kernelI6__halfEvPKT_S3_PS1_i,comdat
	.globl	_ZL16silu_back_kernelI6__halfEvPKT_S3_PS1_i ; -- Begin function _ZL16silu_back_kernelI6__halfEvPKT_S3_PS1_i
	.p2align	8
	.type	_ZL16silu_back_kernelI6__halfEvPKT_S3_PS1_i,@function
_ZL16silu_back_kernelI6__halfEvPKT_S3_PS1_i: ; @_ZL16silu_back_kernelI6__halfEvPKT_S3_PS1_i
; %bb.0:
	s_load_dword s0, s[4:5], 0x2c
	s_load_dword s1, s[4:5], 0x18
	s_waitcnt lgkmcnt(0)
	s_and_b32 s0, s0, 0xffff
	s_mul_i32 s6, s6, s0
	v_add_u32_e32 v0, s6, v0
	v_cmp_gt_i32_e32 vcc, s1, v0
	s_and_saveexec_b64 s[0:1], vcc
	s_cbranch_execz .LBB65_2
; %bb.1:
	s_load_dwordx4 s[0:3], s[4:5], 0x0
	s_load_dwordx2 s[6:7], s[4:5], 0x10
	v_ashrrev_i32_e32 v1, 31, v0
	v_lshlrev_b64 v[0:1], 1, v[0:1]
	s_waitcnt lgkmcnt(0)
	v_mov_b32_e32 v3, s3
	v_add_co_u32_e32 v2, vcc, s2, v0
	v_addc_co_u32_e32 v3, vcc, v3, v1, vcc
	global_load_ushort v4, v[2:3], off
	v_mov_b32_e32 v3, s1
	v_add_co_u32_e32 v2, vcc, s0, v0
	v_addc_co_u32_e32 v3, vcc, v3, v1, vcc
	global_load_ushort v2, v[2:3], off
	s_mov_b32 s0, 0xbfb8aa3b
	s_mov_b32 s1, 0xb2a5705f
	s_waitcnt vmcnt(1)
	v_cvt_f32_f16_e32 v3, v4
	v_mul_f32_e32 v5, 0xbfb8aa3b, v3
	v_fma_mix_f32 v6, v4, s0, -v5 op_sel_hi:[1,0,0]
	v_rndne_f32_e32 v7, v5
	v_fma_mix_f32 v6, v4, s1, v6 op_sel_hi:[1,0,0]
	v_sub_f32_e32 v5, v5, v7
	v_add_f32_e32 v5, v5, v6
	v_cvt_i32_f32_e32 v7, v7
	v_exp_f32_e32 v5, v5
	s_mov_b32 s0, 0x42ce8ed0
	s_mov_b32 s1, 0xc2b17218
	v_cmp_nlt_f32_e32 vcc, s0, v3
	v_ldexp_f32 v5, v5, v7
	v_mov_b32_e32 v6, 0x7f800000
	v_cndmask_b32_e32 v5, 0, v5, vcc
	v_cmp_ngt_f32_e32 vcc, s1, v3
	v_cndmask_b32_e32 v3, v6, v5, vcc
	v_add_f32_e32 v3, 1.0, v3
	v_div_scale_f32 v5, s[0:1], v3, v3, 1.0
	v_div_scale_f32 v6, vcc, 1.0, v3, 1.0
	s_waitcnt vmcnt(0)
	v_cvt_f32_f16_e32 v2, v2
	s_mov_b32 s0, 1.0
	v_rcp_f32_e32 v7, v5
	v_fma_f32 v8, -v5, v7, 1.0
	v_fmac_f32_e32 v7, v8, v7
	v_mul_f32_e32 v8, v6, v7
	v_fma_f32 v9, -v5, v8, v6
	v_fmac_f32_e32 v8, v9, v7
	v_fma_f32 v5, -v5, v8, v6
	v_div_fmas_f32 v5, v5, v7, v8
	v_mov_b32_e32 v6, s7
	v_add_co_u32_e32 v0, vcc, s6, v0
	v_addc_co_u32_e32 v1, vcc, v6, v1, vcc
	v_div_fixup_f32 v3, v5, v3, 1.0
	v_mul_f32_e32 v2, v3, v2
	v_sub_f32_e32 v3, 1.0, v3
	v_fma_mix_f32 v3, v3, v4, s0 op_sel_hi:[0,1,0]
	v_fma_mixlo_f16 v2, v2, v3, 0
	global_store_short v[0:1], v2, off
.LBB65_2:
	s_endpgm
	.section	.rodata,"a",@progbits
	.p2align	6, 0x0
	.amdhsa_kernel _ZL16silu_back_kernelI6__halfEvPKT_S3_PS1_i
		.amdhsa_group_segment_fixed_size 0
		.amdhsa_private_segment_fixed_size 0
		.amdhsa_kernarg_size 288
		.amdhsa_user_sgpr_count 6
		.amdhsa_user_sgpr_private_segment_buffer 1
		.amdhsa_user_sgpr_dispatch_ptr 0
		.amdhsa_user_sgpr_queue_ptr 0
		.amdhsa_user_sgpr_kernarg_segment_ptr 1
		.amdhsa_user_sgpr_dispatch_id 0
		.amdhsa_user_sgpr_flat_scratch_init 0
		.amdhsa_user_sgpr_private_segment_size 0
		.amdhsa_uses_dynamic_stack 0
		.amdhsa_system_sgpr_private_segment_wavefront_offset 0
		.amdhsa_system_sgpr_workgroup_id_x 1
		.amdhsa_system_sgpr_workgroup_id_y 0
		.amdhsa_system_sgpr_workgroup_id_z 0
		.amdhsa_system_sgpr_workgroup_info 0
		.amdhsa_system_vgpr_workitem_id 0
		.amdhsa_next_free_vgpr 10
		.amdhsa_next_free_sgpr 8
		.amdhsa_reserve_vcc 1
		.amdhsa_reserve_flat_scratch 0
		.amdhsa_float_round_mode_32 0
		.amdhsa_float_round_mode_16_64 0
		.amdhsa_float_denorm_mode_32 3
		.amdhsa_float_denorm_mode_16_64 3
		.amdhsa_dx10_clamp 1
		.amdhsa_ieee_mode 1
		.amdhsa_fp16_overflow 0
		.amdhsa_exception_fp_ieee_invalid_op 0
		.amdhsa_exception_fp_denorm_src 0
		.amdhsa_exception_fp_ieee_div_zero 0
		.amdhsa_exception_fp_ieee_overflow 0
		.amdhsa_exception_fp_ieee_underflow 0
		.amdhsa_exception_fp_ieee_inexact 0
		.amdhsa_exception_int_div_zero 0
	.end_amdhsa_kernel
	.section	.text._ZL16silu_back_kernelI6__halfEvPKT_S3_PS1_i,"axG",@progbits,_ZL16silu_back_kernelI6__halfEvPKT_S3_PS1_i,comdat
.Lfunc_end65:
	.size	_ZL16silu_back_kernelI6__halfEvPKT_S3_PS1_i, .Lfunc_end65-_ZL16silu_back_kernelI6__halfEvPKT_S3_PS1_i
                                        ; -- End function
	.set _ZL16silu_back_kernelI6__halfEvPKT_S3_PS1_i.num_vgpr, 10
	.set _ZL16silu_back_kernelI6__halfEvPKT_S3_PS1_i.num_agpr, 0
	.set _ZL16silu_back_kernelI6__halfEvPKT_S3_PS1_i.numbered_sgpr, 8
	.set _ZL16silu_back_kernelI6__halfEvPKT_S3_PS1_i.num_named_barrier, 0
	.set _ZL16silu_back_kernelI6__halfEvPKT_S3_PS1_i.private_seg_size, 0
	.set _ZL16silu_back_kernelI6__halfEvPKT_S3_PS1_i.uses_vcc, 1
	.set _ZL16silu_back_kernelI6__halfEvPKT_S3_PS1_i.uses_flat_scratch, 0
	.set _ZL16silu_back_kernelI6__halfEvPKT_S3_PS1_i.has_dyn_sized_stack, 0
	.set _ZL16silu_back_kernelI6__halfEvPKT_S3_PS1_i.has_recursion, 0
	.set _ZL16silu_back_kernelI6__halfEvPKT_S3_PS1_i.has_indirect_call, 0
	.section	.AMDGPU.csdata,"",@progbits
; Kernel info:
; codeLenInByte = 372
; TotalNumSgprs: 12
; NumVgprs: 10
; ScratchSize: 0
; MemoryBound: 0
; FloatMode: 240
; IeeeMode: 1
; LDSByteSize: 0 bytes/workgroup (compile time only)
; SGPRBlocks: 1
; VGPRBlocks: 2
; NumSGPRsForWavesPerEU: 12
; NumVGPRsForWavesPerEU: 10
; Occupancy: 10
; WaveLimiterHint : 0
; COMPUTE_PGM_RSRC2:SCRATCH_EN: 0
; COMPUTE_PGM_RSRC2:USER_SGPR: 6
; COMPUTE_PGM_RSRC2:TRAP_HANDLER: 0
; COMPUTE_PGM_RSRC2:TGID_X_EN: 1
; COMPUTE_PGM_RSRC2:TGID_Y_EN: 0
; COMPUTE_PGM_RSRC2:TGID_Z_EN: 0
; COMPUTE_PGM_RSRC2:TIDIG_COMP_CNT: 0
	.section	.text._ZL16silu_back_kernelIfEvPKT_S2_PS0_i,"axG",@progbits,_ZL16silu_back_kernelIfEvPKT_S2_PS0_i,comdat
	.globl	_ZL16silu_back_kernelIfEvPKT_S2_PS0_i ; -- Begin function _ZL16silu_back_kernelIfEvPKT_S2_PS0_i
	.p2align	8
	.type	_ZL16silu_back_kernelIfEvPKT_S2_PS0_i,@function
_ZL16silu_back_kernelIfEvPKT_S2_PS0_i:  ; @_ZL16silu_back_kernelIfEvPKT_S2_PS0_i
; %bb.0:
	s_load_dword s0, s[4:5], 0x2c
	s_load_dword s1, s[4:5], 0x18
	s_waitcnt lgkmcnt(0)
	s_and_b32 s0, s0, 0xffff
	s_mul_i32 s6, s6, s0
	v_add_u32_e32 v0, s6, v0
	v_cmp_gt_i32_e32 vcc, s1, v0
	s_and_saveexec_b64 s[0:1], vcc
	s_cbranch_execz .LBB66_2
; %bb.1:
	s_load_dwordx4 s[0:3], s[4:5], 0x0
	s_load_dwordx2 s[6:7], s[4:5], 0x10
	v_ashrrev_i32_e32 v1, 31, v0
	v_lshlrev_b64 v[0:1], 2, v[0:1]
	s_waitcnt lgkmcnt(0)
	v_mov_b32_e32 v3, s3
	v_add_co_u32_e32 v2, vcc, s2, v0
	v_addc_co_u32_e32 v3, vcc, v3, v1, vcc
	global_load_dword v4, v[2:3], off
	v_mov_b32_e32 v3, s1
	v_add_co_u32_e32 v2, vcc, s0, v0
	v_addc_co_u32_e32 v3, vcc, v3, v1, vcc
	global_load_dword v2, v[2:3], off
	s_mov_b32 s0, 0xbfb8aa3b
	s_mov_b32 s1, 0xc2b17218
	s_waitcnt vmcnt(1)
	v_mul_f32_e32 v3, 0xbfb8aa3b, v4
	v_fma_f32 v5, v4, s0, -v3
	v_rndne_f32_e32 v6, v3
	v_fmac_f32_e32 v5, 0xb2a5705f, v4
	v_sub_f32_e32 v3, v3, v6
	v_add_f32_e32 v3, v3, v5
	v_cvt_i32_f32_e32 v6, v6
	v_exp_f32_e32 v3, v3
	s_mov_b32 s0, 0x42ce8ed0
	v_cmp_nlt_f32_e32 vcc, s0, v4
	v_mov_b32_e32 v5, 0x7f800000
	v_ldexp_f32 v3, v3, v6
	v_cndmask_b32_e32 v3, 0, v3, vcc
	v_cmp_ngt_f32_e32 vcc, s1, v4
	v_cndmask_b32_e32 v3, v5, v3, vcc
	v_add_f32_e32 v3, 1.0, v3
	v_div_scale_f32 v5, s[0:1], v3, v3, 1.0
	v_div_scale_f32 v6, vcc, 1.0, v3, 1.0
	v_rcp_f32_e32 v7, v5
	v_fma_f32 v8, -v5, v7, 1.0
	v_fmac_f32_e32 v7, v8, v7
	v_mul_f32_e32 v8, v6, v7
	v_fma_f32 v9, -v5, v8, v6
	v_fmac_f32_e32 v8, v9, v7
	v_fma_f32 v5, -v5, v8, v6
	v_div_fmas_f32 v5, v5, v7, v8
	v_mov_b32_e32 v6, s7
	v_add_co_u32_e32 v0, vcc, s6, v0
	v_addc_co_u32_e32 v1, vcc, v6, v1, vcc
	v_div_fixup_f32 v3, v5, v3, 1.0
	s_waitcnt vmcnt(0)
	v_mul_f32_e32 v2, v2, v3
	v_sub_f32_e32 v3, 1.0, v3
	v_fma_f32 v3, v4, v3, 1.0
	v_mul_f32_e32 v2, v2, v3
	global_store_dword v[0:1], v2, off
.LBB66_2:
	s_endpgm
	.section	.rodata,"a",@progbits
	.p2align	6, 0x0
	.amdhsa_kernel _ZL16silu_back_kernelIfEvPKT_S2_PS0_i
		.amdhsa_group_segment_fixed_size 0
		.amdhsa_private_segment_fixed_size 0
		.amdhsa_kernarg_size 288
		.amdhsa_user_sgpr_count 6
		.amdhsa_user_sgpr_private_segment_buffer 1
		.amdhsa_user_sgpr_dispatch_ptr 0
		.amdhsa_user_sgpr_queue_ptr 0
		.amdhsa_user_sgpr_kernarg_segment_ptr 1
		.amdhsa_user_sgpr_dispatch_id 0
		.amdhsa_user_sgpr_flat_scratch_init 0
		.amdhsa_user_sgpr_private_segment_size 0
		.amdhsa_uses_dynamic_stack 0
		.amdhsa_system_sgpr_private_segment_wavefront_offset 0
		.amdhsa_system_sgpr_workgroup_id_x 1
		.amdhsa_system_sgpr_workgroup_id_y 0
		.amdhsa_system_sgpr_workgroup_id_z 0
		.amdhsa_system_sgpr_workgroup_info 0
		.amdhsa_system_vgpr_workitem_id 0
		.amdhsa_next_free_vgpr 10
		.amdhsa_next_free_sgpr 8
		.amdhsa_reserve_vcc 1
		.amdhsa_reserve_flat_scratch 0
		.amdhsa_float_round_mode_32 0
		.amdhsa_float_round_mode_16_64 0
		.amdhsa_float_denorm_mode_32 3
		.amdhsa_float_denorm_mode_16_64 3
		.amdhsa_dx10_clamp 1
		.amdhsa_ieee_mode 1
		.amdhsa_fp16_overflow 0
		.amdhsa_exception_fp_ieee_invalid_op 0
		.amdhsa_exception_fp_denorm_src 0
		.amdhsa_exception_fp_ieee_div_zero 0
		.amdhsa_exception_fp_ieee_overflow 0
		.amdhsa_exception_fp_ieee_underflow 0
		.amdhsa_exception_fp_ieee_inexact 0
		.amdhsa_exception_int_div_zero 0
	.end_amdhsa_kernel
	.section	.text._ZL16silu_back_kernelIfEvPKT_S2_PS0_i,"axG",@progbits,_ZL16silu_back_kernelIfEvPKT_S2_PS0_i,comdat
.Lfunc_end66:
	.size	_ZL16silu_back_kernelIfEvPKT_S2_PS0_i, .Lfunc_end66-_ZL16silu_back_kernelIfEvPKT_S2_PS0_i
                                        ; -- End function
	.set _ZL16silu_back_kernelIfEvPKT_S2_PS0_i.num_vgpr, 10
	.set _ZL16silu_back_kernelIfEvPKT_S2_PS0_i.num_agpr, 0
	.set _ZL16silu_back_kernelIfEvPKT_S2_PS0_i.numbered_sgpr, 8
	.set _ZL16silu_back_kernelIfEvPKT_S2_PS0_i.num_named_barrier, 0
	.set _ZL16silu_back_kernelIfEvPKT_S2_PS0_i.private_seg_size, 0
	.set _ZL16silu_back_kernelIfEvPKT_S2_PS0_i.uses_vcc, 1
	.set _ZL16silu_back_kernelIfEvPKT_S2_PS0_i.uses_flat_scratch, 0
	.set _ZL16silu_back_kernelIfEvPKT_S2_PS0_i.has_dyn_sized_stack, 0
	.set _ZL16silu_back_kernelIfEvPKT_S2_PS0_i.has_recursion, 0
	.set _ZL16silu_back_kernelIfEvPKT_S2_PS0_i.has_indirect_call, 0
	.section	.AMDGPU.csdata,"",@progbits
; Kernel info:
; codeLenInByte = 348
; TotalNumSgprs: 12
; NumVgprs: 10
; ScratchSize: 0
; MemoryBound: 0
; FloatMode: 240
; IeeeMode: 1
; LDSByteSize: 0 bytes/workgroup (compile time only)
; SGPRBlocks: 1
; VGPRBlocks: 2
; NumSGPRsForWavesPerEU: 12
; NumVGPRsForWavesPerEU: 10
; Occupancy: 10
; WaveLimiterHint : 0
; COMPUTE_PGM_RSRC2:SCRATCH_EN: 0
; COMPUTE_PGM_RSRC2:USER_SGPR: 6
; COMPUTE_PGM_RSRC2:TRAP_HANDLER: 0
; COMPUTE_PGM_RSRC2:TGID_X_EN: 1
; COMPUTE_PGM_RSRC2:TGID_Y_EN: 0
; COMPUTE_PGM_RSRC2:TGID_Z_EN: 0
; COMPUTE_PGM_RSRC2:TIDIG_COMP_CNT: 0
	.section	.text._ZL17leaky_relu_kernelI6__halfEvPKT_PS1_if,"axG",@progbits,_ZL17leaky_relu_kernelI6__halfEvPKT_PS1_if,comdat
	.globl	_ZL17leaky_relu_kernelI6__halfEvPKT_PS1_if ; -- Begin function _ZL17leaky_relu_kernelI6__halfEvPKT_PS1_if
	.p2align	8
	.type	_ZL17leaky_relu_kernelI6__halfEvPKT_PS1_if,@function
_ZL17leaky_relu_kernelI6__halfEvPKT_PS1_if: ; @_ZL17leaky_relu_kernelI6__halfEvPKT_PS1_if
; %bb.0:
	s_load_dword s2, s[4:5], 0x24
	s_load_dwordx2 s[0:1], s[4:5], 0x10
	s_waitcnt lgkmcnt(0)
	s_and_b32 s2, s2, 0xffff
	s_mul_i32 s6, s6, s2
	v_add_u32_e32 v0, s6, v0
	v_cmp_gt_i32_e32 vcc, s0, v0
	s_and_saveexec_b64 s[2:3], vcc
	s_cbranch_execz .LBB67_2
; %bb.1:
	s_load_dwordx4 s[4:7], s[4:5], 0x0
	v_ashrrev_i32_e32 v1, 31, v0
	v_lshlrev_b64 v[0:1], 1, v[0:1]
	s_waitcnt lgkmcnt(0)
	v_mov_b32_e32 v3, s5
	v_add_co_u32_e32 v2, vcc, s4, v0
	v_addc_co_u32_e32 v3, vcc, v3, v1, vcc
	global_load_ushort v2, v[2:3], off
	v_mov_b32_e32 v3, s7
	v_add_co_u32_e32 v0, vcc, s6, v0
	v_addc_co_u32_e32 v1, vcc, v3, v1, vcc
	s_waitcnt vmcnt(0)
	v_cvt_f32_f16_e32 v2, v2
	v_max_f32_e32 v4, 0, v2
	v_min_f32_e32 v2, 0, v2
	v_fma_mixlo_f16 v2, s1, v2, v4
	global_store_short v[0:1], v2, off
.LBB67_2:
	s_endpgm
	.section	.rodata,"a",@progbits
	.p2align	6, 0x0
	.amdhsa_kernel _ZL17leaky_relu_kernelI6__halfEvPKT_PS1_if
		.amdhsa_group_segment_fixed_size 0
		.amdhsa_private_segment_fixed_size 0
		.amdhsa_kernarg_size 280
		.amdhsa_user_sgpr_count 6
		.amdhsa_user_sgpr_private_segment_buffer 1
		.amdhsa_user_sgpr_dispatch_ptr 0
		.amdhsa_user_sgpr_queue_ptr 0
		.amdhsa_user_sgpr_kernarg_segment_ptr 1
		.amdhsa_user_sgpr_dispatch_id 0
		.amdhsa_user_sgpr_flat_scratch_init 0
		.amdhsa_user_sgpr_private_segment_size 0
		.amdhsa_uses_dynamic_stack 0
		.amdhsa_system_sgpr_private_segment_wavefront_offset 0
		.amdhsa_system_sgpr_workgroup_id_x 1
		.amdhsa_system_sgpr_workgroup_id_y 0
		.amdhsa_system_sgpr_workgroup_id_z 0
		.amdhsa_system_sgpr_workgroup_info 0
		.amdhsa_system_vgpr_workitem_id 0
		.amdhsa_next_free_vgpr 5
		.amdhsa_next_free_sgpr 8
		.amdhsa_reserve_vcc 1
		.amdhsa_reserve_flat_scratch 0
		.amdhsa_float_round_mode_32 0
		.amdhsa_float_round_mode_16_64 0
		.amdhsa_float_denorm_mode_32 3
		.amdhsa_float_denorm_mode_16_64 3
		.amdhsa_dx10_clamp 1
		.amdhsa_ieee_mode 1
		.amdhsa_fp16_overflow 0
		.amdhsa_exception_fp_ieee_invalid_op 0
		.amdhsa_exception_fp_denorm_src 0
		.amdhsa_exception_fp_ieee_div_zero 0
		.amdhsa_exception_fp_ieee_overflow 0
		.amdhsa_exception_fp_ieee_underflow 0
		.amdhsa_exception_fp_ieee_inexact 0
		.amdhsa_exception_int_div_zero 0
	.end_amdhsa_kernel
	.section	.text._ZL17leaky_relu_kernelI6__halfEvPKT_PS1_if,"axG",@progbits,_ZL17leaky_relu_kernelI6__halfEvPKT_PS1_if,comdat
.Lfunc_end67:
	.size	_ZL17leaky_relu_kernelI6__halfEvPKT_PS1_if, .Lfunc_end67-_ZL17leaky_relu_kernelI6__halfEvPKT_PS1_if
                                        ; -- End function
	.set _ZL17leaky_relu_kernelI6__halfEvPKT_PS1_if.num_vgpr, 5
	.set _ZL17leaky_relu_kernelI6__halfEvPKT_PS1_if.num_agpr, 0
	.set _ZL17leaky_relu_kernelI6__halfEvPKT_PS1_if.numbered_sgpr, 8
	.set _ZL17leaky_relu_kernelI6__halfEvPKT_PS1_if.num_named_barrier, 0
	.set _ZL17leaky_relu_kernelI6__halfEvPKT_PS1_if.private_seg_size, 0
	.set _ZL17leaky_relu_kernelI6__halfEvPKT_PS1_if.uses_vcc, 1
	.set _ZL17leaky_relu_kernelI6__halfEvPKT_PS1_if.uses_flat_scratch, 0
	.set _ZL17leaky_relu_kernelI6__halfEvPKT_PS1_if.has_dyn_sized_stack, 0
	.set _ZL17leaky_relu_kernelI6__halfEvPKT_PS1_if.has_recursion, 0
	.set _ZL17leaky_relu_kernelI6__halfEvPKT_PS1_if.has_indirect_call, 0
	.section	.AMDGPU.csdata,"",@progbits
; Kernel info:
; codeLenInByte = 140
; TotalNumSgprs: 12
; NumVgprs: 5
; ScratchSize: 0
; MemoryBound: 0
; FloatMode: 240
; IeeeMode: 1
; LDSByteSize: 0 bytes/workgroup (compile time only)
; SGPRBlocks: 1
; VGPRBlocks: 1
; NumSGPRsForWavesPerEU: 12
; NumVGPRsForWavesPerEU: 5
; Occupancy: 10
; WaveLimiterHint : 0
; COMPUTE_PGM_RSRC2:SCRATCH_EN: 0
; COMPUTE_PGM_RSRC2:USER_SGPR: 6
; COMPUTE_PGM_RSRC2:TRAP_HANDLER: 0
; COMPUTE_PGM_RSRC2:TGID_X_EN: 1
; COMPUTE_PGM_RSRC2:TGID_Y_EN: 0
; COMPUTE_PGM_RSRC2:TGID_Z_EN: 0
; COMPUTE_PGM_RSRC2:TIDIG_COMP_CNT: 0
	.section	.text._ZL17leaky_relu_kernelIfEvPKT_PS0_if,"axG",@progbits,_ZL17leaky_relu_kernelIfEvPKT_PS0_if,comdat
	.globl	_ZL17leaky_relu_kernelIfEvPKT_PS0_if ; -- Begin function _ZL17leaky_relu_kernelIfEvPKT_PS0_if
	.p2align	8
	.type	_ZL17leaky_relu_kernelIfEvPKT_PS0_if,@function
_ZL17leaky_relu_kernelIfEvPKT_PS0_if:   ; @_ZL17leaky_relu_kernelIfEvPKT_PS0_if
; %bb.0:
	s_load_dword s2, s[4:5], 0x24
	s_load_dwordx2 s[0:1], s[4:5], 0x10
	s_waitcnt lgkmcnt(0)
	s_and_b32 s2, s2, 0xffff
	s_mul_i32 s6, s6, s2
	v_add_u32_e32 v0, s6, v0
	v_cmp_gt_i32_e32 vcc, s0, v0
	s_and_saveexec_b64 s[2:3], vcc
	s_cbranch_execz .LBB68_2
; %bb.1:
	s_load_dwordx4 s[4:7], s[4:5], 0x0
	v_ashrrev_i32_e32 v1, 31, v0
	v_lshlrev_b64 v[0:1], 2, v[0:1]
	s_waitcnt lgkmcnt(0)
	v_mov_b32_e32 v3, s5
	v_add_co_u32_e32 v2, vcc, s4, v0
	v_addc_co_u32_e32 v3, vcc, v3, v1, vcc
	global_load_dword v2, v[2:3], off
	v_mov_b32_e32 v3, s7
	v_add_co_u32_e32 v0, vcc, s6, v0
	v_addc_co_u32_e32 v1, vcc, v3, v1, vcc
	s_waitcnt vmcnt(0)
	v_max_f32_e32 v2, v2, v2
	v_max_f32_e32 v4, 0, v2
	v_min_f32_e32 v2, 0, v2
	v_fmac_f32_e32 v4, s1, v2
	global_store_dword v[0:1], v4, off
.LBB68_2:
	s_endpgm
	.section	.rodata,"a",@progbits
	.p2align	6, 0x0
	.amdhsa_kernel _ZL17leaky_relu_kernelIfEvPKT_PS0_if
		.amdhsa_group_segment_fixed_size 0
		.amdhsa_private_segment_fixed_size 0
		.amdhsa_kernarg_size 280
		.amdhsa_user_sgpr_count 6
		.amdhsa_user_sgpr_private_segment_buffer 1
		.amdhsa_user_sgpr_dispatch_ptr 0
		.amdhsa_user_sgpr_queue_ptr 0
		.amdhsa_user_sgpr_kernarg_segment_ptr 1
		.amdhsa_user_sgpr_dispatch_id 0
		.amdhsa_user_sgpr_flat_scratch_init 0
		.amdhsa_user_sgpr_private_segment_size 0
		.amdhsa_uses_dynamic_stack 0
		.amdhsa_system_sgpr_private_segment_wavefront_offset 0
		.amdhsa_system_sgpr_workgroup_id_x 1
		.amdhsa_system_sgpr_workgroup_id_y 0
		.amdhsa_system_sgpr_workgroup_id_z 0
		.amdhsa_system_sgpr_workgroup_info 0
		.amdhsa_system_vgpr_workitem_id 0
		.amdhsa_next_free_vgpr 5
		.amdhsa_next_free_sgpr 8
		.amdhsa_reserve_vcc 1
		.amdhsa_reserve_flat_scratch 0
		.amdhsa_float_round_mode_32 0
		.amdhsa_float_round_mode_16_64 0
		.amdhsa_float_denorm_mode_32 3
		.amdhsa_float_denorm_mode_16_64 3
		.amdhsa_dx10_clamp 1
		.amdhsa_ieee_mode 1
		.amdhsa_fp16_overflow 0
		.amdhsa_exception_fp_ieee_invalid_op 0
		.amdhsa_exception_fp_denorm_src 0
		.amdhsa_exception_fp_ieee_div_zero 0
		.amdhsa_exception_fp_ieee_overflow 0
		.amdhsa_exception_fp_ieee_underflow 0
		.amdhsa_exception_fp_ieee_inexact 0
		.amdhsa_exception_int_div_zero 0
	.end_amdhsa_kernel
	.section	.text._ZL17leaky_relu_kernelIfEvPKT_PS0_if,"axG",@progbits,_ZL17leaky_relu_kernelIfEvPKT_PS0_if,comdat
.Lfunc_end68:
	.size	_ZL17leaky_relu_kernelIfEvPKT_PS0_if, .Lfunc_end68-_ZL17leaky_relu_kernelIfEvPKT_PS0_if
                                        ; -- End function
	.set _ZL17leaky_relu_kernelIfEvPKT_PS0_if.num_vgpr, 5
	.set _ZL17leaky_relu_kernelIfEvPKT_PS0_if.num_agpr, 0
	.set _ZL17leaky_relu_kernelIfEvPKT_PS0_if.numbered_sgpr, 8
	.set _ZL17leaky_relu_kernelIfEvPKT_PS0_if.num_named_barrier, 0
	.set _ZL17leaky_relu_kernelIfEvPKT_PS0_if.private_seg_size, 0
	.set _ZL17leaky_relu_kernelIfEvPKT_PS0_if.uses_vcc, 1
	.set _ZL17leaky_relu_kernelIfEvPKT_PS0_if.uses_flat_scratch, 0
	.set _ZL17leaky_relu_kernelIfEvPKT_PS0_if.has_dyn_sized_stack, 0
	.set _ZL17leaky_relu_kernelIfEvPKT_PS0_if.has_recursion, 0
	.set _ZL17leaky_relu_kernelIfEvPKT_PS0_if.has_indirect_call, 0
	.section	.AMDGPU.csdata,"",@progbits
; Kernel info:
; codeLenInByte = 136
; TotalNumSgprs: 12
; NumVgprs: 5
; ScratchSize: 0
; MemoryBound: 0
; FloatMode: 240
; IeeeMode: 1
; LDSByteSize: 0 bytes/workgroup (compile time only)
; SGPRBlocks: 1
; VGPRBlocks: 1
; NumSGPRsForWavesPerEU: 12
; NumVGPRsForWavesPerEU: 5
; Occupancy: 10
; WaveLimiterHint : 0
; COMPUTE_PGM_RSRC2:SCRATCH_EN: 0
; COMPUTE_PGM_RSRC2:USER_SGPR: 6
; COMPUTE_PGM_RSRC2:TRAP_HANDLER: 0
; COMPUTE_PGM_RSRC2:TGID_X_EN: 1
; COMPUTE_PGM_RSRC2:TGID_Y_EN: 0
; COMPUTE_PGM_RSRC2:TGID_Z_EN: 0
; COMPUTE_PGM_RSRC2:TIDIG_COMP_CNT: 0
	.section	.text._ZL21unary_gated_op_kernelIXadL_ZL10op_sigmoidfEE6__halfEvPKT0_S3_PS1_llll,"axG",@progbits,_ZL21unary_gated_op_kernelIXadL_ZL10op_sigmoidfEE6__halfEvPKT0_S3_PS1_llll,comdat
	.globl	_ZL21unary_gated_op_kernelIXadL_ZL10op_sigmoidfEE6__halfEvPKT0_S3_PS1_llll ; -- Begin function _ZL21unary_gated_op_kernelIXadL_ZL10op_sigmoidfEE6__halfEvPKT0_S3_PS1_llll
	.p2align	8
	.type	_ZL21unary_gated_op_kernelIXadL_ZL10op_sigmoidfEE6__halfEvPKT0_S3_PS1_llll,@function
_ZL21unary_gated_op_kernelIXadL_ZL10op_sigmoidfEE6__halfEvPKT0_S3_PS1_llll: ; @_ZL21unary_gated_op_kernelIXadL_ZL10op_sigmoidfEE6__halfEvPKT0_S3_PS1_llll
; %bb.0:
	s_load_dword s0, s[4:5], 0x44
	v_mov_b32_e32 v2, 0
	s_load_dwordx8 s[8:15], s[4:5], 0x0
	v_mov_b32_e32 v1, v2
	v_mov_b32_e32 v3, s6
	s_waitcnt lgkmcnt(0)
	s_and_b32 s0, s0, 0xffff
	v_mad_u64_u32 v[0:1], s[0:1], s0, v3, v[0:1]
	v_cmp_gt_i64_e32 vcc, s[14:15], v[0:1]
	s_and_saveexec_b64 s[0:1], vcc
	s_cbranch_execz .LBB69_8
; %bb.1:
	s_load_dwordx8 s[16:23], s[4:5], 0x20
	s_waitcnt lgkmcnt(0)
	v_or_b32_e32 v3, s17, v1
	v_cmp_ne_u64_e32 vcc, 0, v[2:3]
                                        ; implicit-def: $vgpr2_vgpr3
	s_and_saveexec_b64 s[0:1], vcc
	s_xor_b64 s[2:3], exec, s[0:1]
	s_cbranch_execz .LBB69_3
; %bb.2:
	s_ashr_i32 s4, s17, 31
	s_add_u32 s0, s16, s4
	s_mov_b32 s5, s4
	s_addc_u32 s1, s17, s4
	s_xor_b64 s[6:7], s[0:1], s[4:5]
	v_cvt_f32_u32_e32 v2, s6
	v_cvt_f32_u32_e32 v3, s7
	s_sub_u32 s5, 0, s6
	s_subb_u32 s14, 0, s7
	v_ashrrev_i32_e32 v6, 31, v1
	v_madmk_f32 v2, v3, 0x4f800000, v2
	v_rcp_f32_e32 v2, v2
	v_mul_f32_e32 v2, 0x5f7ffffc, v2
	v_mul_f32_e32 v3, 0x2f800000, v2
	v_trunc_f32_e32 v3, v3
	v_madmk_f32 v2, v3, 0xcf800000, v2
	v_cvt_u32_f32_e32 v3, v3
	v_cvt_u32_f32_e32 v2, v2
	v_readfirstlane_b32 s15, v3
	v_readfirstlane_b32 s0, v2
	s_mul_i32 s1, s5, s15
	s_mul_hi_u32 s23, s5, s0
	s_mul_i32 s22, s14, s0
	s_add_i32 s1, s23, s1
	s_add_i32 s1, s1, s22
	s_mul_i32 s24, s5, s0
	s_mul_i32 s23, s0, s1
	s_mul_hi_u32 s25, s0, s24
	s_mul_hi_u32 s22, s0, s1
	s_add_u32 s23, s25, s23
	s_addc_u32 s22, 0, s22
	s_mul_hi_u32 s26, s15, s24
	s_mul_i32 s24, s15, s24
	s_add_u32 s23, s23, s24
	s_mul_hi_u32 s25, s15, s1
	s_addc_u32 s22, s22, s26
	s_addc_u32 s23, s25, 0
	s_mul_i32 s1, s15, s1
	s_add_u32 s1, s22, s1
	s_addc_u32 s22, 0, s23
	s_add_u32 s23, s0, s1
	s_cselect_b64 s[0:1], -1, 0
	s_cmp_lg_u64 s[0:1], 0
	s_addc_u32 s15, s15, s22
	s_mul_i32 s0, s5, s15
	s_mul_hi_u32 s1, s5, s23
	s_add_i32 s0, s1, s0
	s_mul_i32 s14, s14, s23
	s_add_i32 s0, s0, s14
	s_mul_i32 s5, s5, s23
	s_mul_hi_u32 s14, s15, s5
	s_mul_i32 s22, s15, s5
	s_mul_i32 s25, s23, s0
	s_mul_hi_u32 s5, s23, s5
	s_mul_hi_u32 s24, s23, s0
	s_add_u32 s5, s5, s25
	s_addc_u32 s24, 0, s24
	s_add_u32 s5, s5, s22
	s_mul_hi_u32 s1, s15, s0
	s_addc_u32 s5, s24, s14
	s_addc_u32 s1, s1, 0
	s_mul_i32 s0, s15, s0
	s_add_u32 s0, s5, s0
	s_addc_u32 s5, 0, s1
	s_add_u32 s14, s23, s0
	s_cselect_b64 s[0:1], -1, 0
	s_cmp_lg_u64 s[0:1], 0
	v_add_co_u32_e32 v2, vcc, v0, v6
	s_addc_u32 s5, s15, s5
	v_xor_b32_e32 v7, v2, v6
	v_mad_u64_u32 v[2:3], s[0:1], v7, s5, 0
	v_mul_hi_u32 v5, v7, s14
	v_addc_co_u32_e32 v4, vcc, v1, v6, vcc
	v_xor_b32_e32 v8, v4, v6
	v_add_co_u32_e32 v9, vcc, v5, v2
	v_addc_co_u32_e32 v10, vcc, 0, v3, vcc
	v_mad_u64_u32 v[2:3], s[0:1], v8, s14, 0
	v_mad_u64_u32 v[4:5], s[0:1], v8, s5, 0
	v_add_co_u32_e32 v2, vcc, v9, v2
	v_addc_co_u32_e32 v2, vcc, v10, v3, vcc
	v_addc_co_u32_e32 v3, vcc, 0, v5, vcc
	v_add_co_u32_e32 v4, vcc, v2, v4
	v_addc_co_u32_e32 v5, vcc, 0, v3, vcc
	v_mul_lo_u32 v9, s7, v4
	v_mul_lo_u32 v10, s6, v5
	v_mad_u64_u32 v[2:3], s[0:1], s6, v4, 0
	v_add3_u32 v3, v3, v10, v9
	v_sub_u32_e32 v9, v8, v3
	v_mov_b32_e32 v10, s7
	v_sub_co_u32_e32 v2, vcc, v7, v2
	v_subb_co_u32_e64 v7, s[0:1], v9, v10, vcc
	v_subrev_co_u32_e64 v9, s[0:1], s6, v2
	v_subbrev_co_u32_e64 v7, s[0:1], 0, v7, s[0:1]
	v_cmp_le_u32_e64 s[0:1], s7, v7
	v_cndmask_b32_e64 v10, 0, -1, s[0:1]
	v_cmp_le_u32_e64 s[0:1], s6, v9
	v_cndmask_b32_e64 v9, 0, -1, s[0:1]
	v_cmp_eq_u32_e64 s[0:1], s7, v7
	v_cndmask_b32_e64 v7, v10, v9, s[0:1]
	v_add_co_u32_e64 v9, s[0:1], 2, v4
	v_subb_co_u32_e32 v3, vcc, v8, v3, vcc
	v_addc_co_u32_e64 v10, s[0:1], 0, v5, s[0:1]
	v_cmp_le_u32_e32 vcc, s7, v3
	v_add_co_u32_e64 v11, s[0:1], 1, v4
	v_cndmask_b32_e64 v8, 0, -1, vcc
	v_cmp_le_u32_e32 vcc, s6, v2
	v_addc_co_u32_e64 v12, s[0:1], 0, v5, s[0:1]
	v_cndmask_b32_e64 v2, 0, -1, vcc
	v_cmp_eq_u32_e32 vcc, s7, v3
	v_cmp_ne_u32_e64 s[0:1], 0, v7
	v_cndmask_b32_e32 v2, v8, v2, vcc
	v_cndmask_b32_e64 v7, v12, v10, s[0:1]
	v_cmp_ne_u32_e32 vcc, 0, v2
	v_cndmask_b32_e64 v3, v11, v9, s[0:1]
	v_cndmask_b32_e32 v2, v5, v7, vcc
	v_cndmask_b32_e32 v3, v4, v3, vcc
	v_xor_b32_e32 v4, s4, v6
	v_xor_b32_e32 v5, v2, v4
	;; [unrolled: 1-line block ×3, first 2 shown]
	v_sub_co_u32_e32 v2, vcc, v2, v4
	v_subb_co_u32_e32 v3, vcc, v5, v4, vcc
.LBB69_3:
	s_andn2_saveexec_b64 s[0:1], s[2:3]
	s_cbranch_execz .LBB69_5
; %bb.4:
	v_cvt_f32_u32_e32 v2, s16
	s_sub_i32 s2, 0, s16
	v_rcp_iflag_f32_e32 v2, v2
	v_mul_f32_e32 v2, 0x4f7ffffe, v2
	v_cvt_u32_f32_e32 v2, v2
	v_mul_lo_u32 v3, s2, v2
	v_mul_hi_u32 v3, v2, v3
	v_add_u32_e32 v2, v2, v3
	v_mul_hi_u32 v2, v0, v2
	v_mul_lo_u32 v3, v2, s16
	v_add_u32_e32 v4, 1, v2
	v_sub_u32_e32 v3, v0, v3
	v_subrev_u32_e32 v5, s16, v3
	v_cmp_le_u32_e32 vcc, s16, v3
	v_cndmask_b32_e32 v3, v3, v5, vcc
	v_cndmask_b32_e32 v2, v2, v4, vcc
	v_add_u32_e32 v4, 1, v2
	v_cmp_le_u32_e32 vcc, s16, v3
	v_cndmask_b32_e32 v2, v2, v4, vcc
	v_mov_b32_e32 v3, 0
.LBB69_5:
	s_or_b64 exec, exec, s[0:1]
	v_mul_lo_u32 v6, v3, s16
	v_mul_lo_u32 v7, v2, s17
	v_mad_u64_u32 v[4:5], s[0:1], v2, s16, 0
	s_cmp_eq_u64 s[18:19], s[20:21]
	v_add3_u32 v5, v5, v7, v6
	v_sub_co_u32_e32 v8, vcc, v0, v4
	v_subb_co_u32_e32 v9, vcc, v1, v5, vcc
	v_mad_u64_u32 v[6:7], s[0:1], v2, s18, v[8:9]
	v_mul_lo_u32 v4, v2, s19
	v_mul_lo_u32 v5, v3, s18
	v_add3_u32 v7, v5, v7, v4
	v_mov_b32_e32 v4, v6
	v_mov_b32_e32 v5, v7
	s_cbranch_scc1 .LBB69_7
; %bb.6:
	v_mad_u64_u32 v[4:5], s[0:1], v2, s20, v[8:9]
	v_mul_lo_u32 v2, v2, s21
	v_mul_lo_u32 v3, v3, s20
	v_add3_u32 v5, v3, v5, v2
.LBB69_7:
	v_lshlrev_b64 v[2:3], 1, v[6:7]
	v_mov_b32_e32 v6, s9
	v_add_co_u32_e32 v2, vcc, s8, v2
	v_addc_co_u32_e32 v3, vcc, v6, v3, vcc
	global_load_ushort v6, v[2:3], off
	v_lshlrev_b64 v[2:3], 1, v[4:5]
	v_mov_b32_e32 v4, s11
	v_add_co_u32_e32 v2, vcc, s10, v2
	v_addc_co_u32_e32 v3, vcc, v4, v3, vcc
	global_load_ushort v2, v[2:3], off
	s_mov_b32 s0, 0x3fb8aa3b
	s_mov_b32 s1, 0x32a5705f
	v_lshlrev_b64 v[0:1], 1, v[0:1]
	s_waitcnt vmcnt(1)
	v_cvt_f32_f16_e64 v3, -v6
	v_mul_f32_e32 v4, 0x3fb8aa3b, v3
	v_fma_mix_f32 v5, -v6, s0, -v4 op_sel_hi:[1,0,0]
	v_rndne_f32_e32 v7, v4
	v_fma_mix_f32 v5, -v6, s1, v5 op_sel_hi:[1,0,0]
	v_sub_f32_e32 v4, v4, v7
	v_add_f32_e32 v4, v4, v5
	v_cvt_i32_f32_e32 v6, v7
	v_exp_f32_e32 v4, v4
	s_mov_b32 s0, 0xc2ce8ed0
	s_mov_b32 s1, 0x42b17218
	v_cmp_ngt_f32_e32 vcc, s0, v3
	v_ldexp_f32 v4, v4, v6
	v_mov_b32_e32 v5, 0x7f800000
	v_cndmask_b32_e32 v4, 0, v4, vcc
	v_cmp_nlt_f32_e32 vcc, s1, v3
	v_cndmask_b32_e32 v3, v5, v4, vcc
	v_add_f32_e32 v3, 1.0, v3
	v_div_scale_f32 v4, s[0:1], v3, v3, 1.0
	v_div_scale_f32 v5, vcc, 1.0, v3, 1.0
	v_rcp_f32_e32 v6, v4
	v_fma_f32 v7, -v4, v6, 1.0
	v_fmac_f32_e32 v6, v7, v6
	v_mul_f32_e32 v7, v5, v6
	v_fma_f32 v8, -v4, v7, v5
	v_fmac_f32_e32 v7, v8, v6
	v_fma_f32 v4, -v4, v7, v5
	v_div_fmas_f32 v4, v4, v6, v7
	v_mov_b32_e32 v5, s13
	v_add_co_u32_e32 v0, vcc, s12, v0
	v_addc_co_u32_e32 v1, vcc, v5, v1, vcc
	v_div_fixup_f32 v3, v4, v3, 1.0
	s_waitcnt vmcnt(0)
	v_fma_mixlo_f16 v2, v3, v2, 0 op_sel_hi:[0,1,0]
	global_store_short v[0:1], v2, off
.LBB69_8:
	s_endpgm
	.section	.rodata,"a",@progbits
	.p2align	6, 0x0
	.amdhsa_kernel _ZL21unary_gated_op_kernelIXadL_ZL10op_sigmoidfEE6__halfEvPKT0_S3_PS1_llll
		.amdhsa_group_segment_fixed_size 0
		.amdhsa_private_segment_fixed_size 0
		.amdhsa_kernarg_size 312
		.amdhsa_user_sgpr_count 6
		.amdhsa_user_sgpr_private_segment_buffer 1
		.amdhsa_user_sgpr_dispatch_ptr 0
		.amdhsa_user_sgpr_queue_ptr 0
		.amdhsa_user_sgpr_kernarg_segment_ptr 1
		.amdhsa_user_sgpr_dispatch_id 0
		.amdhsa_user_sgpr_flat_scratch_init 0
		.amdhsa_user_sgpr_private_segment_size 0
		.amdhsa_uses_dynamic_stack 0
		.amdhsa_system_sgpr_private_segment_wavefront_offset 0
		.amdhsa_system_sgpr_workgroup_id_x 1
		.amdhsa_system_sgpr_workgroup_id_y 0
		.amdhsa_system_sgpr_workgroup_id_z 0
		.amdhsa_system_sgpr_workgroup_info 0
		.amdhsa_system_vgpr_workitem_id 0
		.amdhsa_next_free_vgpr 13
		.amdhsa_next_free_sgpr 27
		.amdhsa_reserve_vcc 1
		.amdhsa_reserve_flat_scratch 0
		.amdhsa_float_round_mode_32 0
		.amdhsa_float_round_mode_16_64 0
		.amdhsa_float_denorm_mode_32 3
		.amdhsa_float_denorm_mode_16_64 3
		.amdhsa_dx10_clamp 1
		.amdhsa_ieee_mode 1
		.amdhsa_fp16_overflow 0
		.amdhsa_exception_fp_ieee_invalid_op 0
		.amdhsa_exception_fp_denorm_src 0
		.amdhsa_exception_fp_ieee_div_zero 0
		.amdhsa_exception_fp_ieee_overflow 0
		.amdhsa_exception_fp_ieee_underflow 0
		.amdhsa_exception_fp_ieee_inexact 0
		.amdhsa_exception_int_div_zero 0
	.end_amdhsa_kernel
	.section	.text._ZL21unary_gated_op_kernelIXadL_ZL10op_sigmoidfEE6__halfEvPKT0_S3_PS1_llll,"axG",@progbits,_ZL21unary_gated_op_kernelIXadL_ZL10op_sigmoidfEE6__halfEvPKT0_S3_PS1_llll,comdat
.Lfunc_end69:
	.size	_ZL21unary_gated_op_kernelIXadL_ZL10op_sigmoidfEE6__halfEvPKT0_S3_PS1_llll, .Lfunc_end69-_ZL21unary_gated_op_kernelIXadL_ZL10op_sigmoidfEE6__halfEvPKT0_S3_PS1_llll
                                        ; -- End function
	.set _ZL21unary_gated_op_kernelIXadL_ZL10op_sigmoidfEE6__halfEvPKT0_S3_PS1_llll.num_vgpr, 13
	.set _ZL21unary_gated_op_kernelIXadL_ZL10op_sigmoidfEE6__halfEvPKT0_S3_PS1_llll.num_agpr, 0
	.set _ZL21unary_gated_op_kernelIXadL_ZL10op_sigmoidfEE6__halfEvPKT0_S3_PS1_llll.numbered_sgpr, 27
	.set _ZL21unary_gated_op_kernelIXadL_ZL10op_sigmoidfEE6__halfEvPKT0_S3_PS1_llll.num_named_barrier, 0
	.set _ZL21unary_gated_op_kernelIXadL_ZL10op_sigmoidfEE6__halfEvPKT0_S3_PS1_llll.private_seg_size, 0
	.set _ZL21unary_gated_op_kernelIXadL_ZL10op_sigmoidfEE6__halfEvPKT0_S3_PS1_llll.uses_vcc, 1
	.set _ZL21unary_gated_op_kernelIXadL_ZL10op_sigmoidfEE6__halfEvPKT0_S3_PS1_llll.uses_flat_scratch, 0
	.set _ZL21unary_gated_op_kernelIXadL_ZL10op_sigmoidfEE6__halfEvPKT0_S3_PS1_llll.has_dyn_sized_stack, 0
	.set _ZL21unary_gated_op_kernelIXadL_ZL10op_sigmoidfEE6__halfEvPKT0_S3_PS1_llll.has_recursion, 0
	.set _ZL21unary_gated_op_kernelIXadL_ZL10op_sigmoidfEE6__halfEvPKT0_S3_PS1_llll.has_indirect_call, 0
	.section	.AMDGPU.csdata,"",@progbits
; Kernel info:
; codeLenInByte = 1232
; TotalNumSgprs: 31
; NumVgprs: 13
; ScratchSize: 0
; MemoryBound: 0
; FloatMode: 240
; IeeeMode: 1
; LDSByteSize: 0 bytes/workgroup (compile time only)
; SGPRBlocks: 3
; VGPRBlocks: 3
; NumSGPRsForWavesPerEU: 31
; NumVGPRsForWavesPerEU: 13
; Occupancy: 10
; WaveLimiterHint : 0
; COMPUTE_PGM_RSRC2:SCRATCH_EN: 0
; COMPUTE_PGM_RSRC2:USER_SGPR: 6
; COMPUTE_PGM_RSRC2:TRAP_HANDLER: 0
; COMPUTE_PGM_RSRC2:TGID_X_EN: 1
; COMPUTE_PGM_RSRC2:TGID_Y_EN: 0
; COMPUTE_PGM_RSRC2:TGID_Z_EN: 0
; COMPUTE_PGM_RSRC2:TIDIG_COMP_CNT: 0
	.section	.text._ZL21unary_gated_op_kernelIXadL_ZL10op_sigmoidfEEfEvPKT0_S2_PS0_llll,"axG",@progbits,_ZL21unary_gated_op_kernelIXadL_ZL10op_sigmoidfEEfEvPKT0_S2_PS0_llll,comdat
	.globl	_ZL21unary_gated_op_kernelIXadL_ZL10op_sigmoidfEEfEvPKT0_S2_PS0_llll ; -- Begin function _ZL21unary_gated_op_kernelIXadL_ZL10op_sigmoidfEEfEvPKT0_S2_PS0_llll
	.p2align	8
	.type	_ZL21unary_gated_op_kernelIXadL_ZL10op_sigmoidfEEfEvPKT0_S2_PS0_llll,@function
_ZL21unary_gated_op_kernelIXadL_ZL10op_sigmoidfEEfEvPKT0_S2_PS0_llll: ; @_ZL21unary_gated_op_kernelIXadL_ZL10op_sigmoidfEEfEvPKT0_S2_PS0_llll
; %bb.0:
	s_load_dword s0, s[4:5], 0x44
	v_mov_b32_e32 v2, 0
	s_load_dwordx8 s[8:15], s[4:5], 0x0
	v_mov_b32_e32 v1, v2
	v_mov_b32_e32 v3, s6
	s_waitcnt lgkmcnt(0)
	s_and_b32 s0, s0, 0xffff
	v_mad_u64_u32 v[0:1], s[0:1], s0, v3, v[0:1]
	v_cmp_gt_i64_e32 vcc, s[14:15], v[0:1]
	s_and_saveexec_b64 s[0:1], vcc
	s_cbranch_execz .LBB70_8
; %bb.1:
	s_load_dwordx8 s[16:23], s[4:5], 0x20
	s_waitcnt lgkmcnt(0)
	v_or_b32_e32 v3, s17, v1
	v_cmp_ne_u64_e32 vcc, 0, v[2:3]
                                        ; implicit-def: $vgpr2_vgpr3
	s_and_saveexec_b64 s[0:1], vcc
	s_xor_b64 s[2:3], exec, s[0:1]
	s_cbranch_execz .LBB70_3
; %bb.2:
	s_ashr_i32 s4, s17, 31
	s_add_u32 s0, s16, s4
	s_mov_b32 s5, s4
	s_addc_u32 s1, s17, s4
	s_xor_b64 s[6:7], s[0:1], s[4:5]
	v_cvt_f32_u32_e32 v2, s6
	v_cvt_f32_u32_e32 v3, s7
	s_sub_u32 s5, 0, s6
	s_subb_u32 s14, 0, s7
	v_ashrrev_i32_e32 v6, 31, v1
	v_madmk_f32 v2, v3, 0x4f800000, v2
	v_rcp_f32_e32 v2, v2
	v_mul_f32_e32 v2, 0x5f7ffffc, v2
	v_mul_f32_e32 v3, 0x2f800000, v2
	v_trunc_f32_e32 v3, v3
	v_madmk_f32 v2, v3, 0xcf800000, v2
	v_cvt_u32_f32_e32 v3, v3
	v_cvt_u32_f32_e32 v2, v2
	v_readfirstlane_b32 s15, v3
	v_readfirstlane_b32 s0, v2
	s_mul_i32 s1, s5, s15
	s_mul_hi_u32 s23, s5, s0
	s_mul_i32 s22, s14, s0
	s_add_i32 s1, s23, s1
	s_add_i32 s1, s1, s22
	s_mul_i32 s24, s5, s0
	s_mul_i32 s23, s0, s1
	s_mul_hi_u32 s25, s0, s24
	s_mul_hi_u32 s22, s0, s1
	s_add_u32 s23, s25, s23
	s_addc_u32 s22, 0, s22
	s_mul_hi_u32 s26, s15, s24
	s_mul_i32 s24, s15, s24
	s_add_u32 s23, s23, s24
	s_mul_hi_u32 s25, s15, s1
	s_addc_u32 s22, s22, s26
	s_addc_u32 s23, s25, 0
	s_mul_i32 s1, s15, s1
	s_add_u32 s1, s22, s1
	s_addc_u32 s22, 0, s23
	s_add_u32 s23, s0, s1
	s_cselect_b64 s[0:1], -1, 0
	s_cmp_lg_u64 s[0:1], 0
	s_addc_u32 s15, s15, s22
	s_mul_i32 s0, s5, s15
	s_mul_hi_u32 s1, s5, s23
	s_add_i32 s0, s1, s0
	s_mul_i32 s14, s14, s23
	s_add_i32 s0, s0, s14
	s_mul_i32 s5, s5, s23
	s_mul_hi_u32 s14, s15, s5
	s_mul_i32 s22, s15, s5
	s_mul_i32 s25, s23, s0
	s_mul_hi_u32 s5, s23, s5
	s_mul_hi_u32 s24, s23, s0
	s_add_u32 s5, s5, s25
	s_addc_u32 s24, 0, s24
	s_add_u32 s5, s5, s22
	s_mul_hi_u32 s1, s15, s0
	s_addc_u32 s5, s24, s14
	s_addc_u32 s1, s1, 0
	s_mul_i32 s0, s15, s0
	s_add_u32 s0, s5, s0
	s_addc_u32 s5, 0, s1
	s_add_u32 s14, s23, s0
	s_cselect_b64 s[0:1], -1, 0
	s_cmp_lg_u64 s[0:1], 0
	v_add_co_u32_e32 v2, vcc, v0, v6
	s_addc_u32 s5, s15, s5
	v_xor_b32_e32 v7, v2, v6
	v_mad_u64_u32 v[2:3], s[0:1], v7, s5, 0
	v_mul_hi_u32 v5, v7, s14
	v_addc_co_u32_e32 v4, vcc, v1, v6, vcc
	v_xor_b32_e32 v8, v4, v6
	v_add_co_u32_e32 v9, vcc, v5, v2
	v_addc_co_u32_e32 v10, vcc, 0, v3, vcc
	v_mad_u64_u32 v[2:3], s[0:1], v8, s14, 0
	v_mad_u64_u32 v[4:5], s[0:1], v8, s5, 0
	v_add_co_u32_e32 v2, vcc, v9, v2
	v_addc_co_u32_e32 v2, vcc, v10, v3, vcc
	v_addc_co_u32_e32 v3, vcc, 0, v5, vcc
	v_add_co_u32_e32 v4, vcc, v2, v4
	v_addc_co_u32_e32 v5, vcc, 0, v3, vcc
	v_mul_lo_u32 v9, s7, v4
	v_mul_lo_u32 v10, s6, v5
	v_mad_u64_u32 v[2:3], s[0:1], s6, v4, 0
	v_add3_u32 v3, v3, v10, v9
	v_sub_u32_e32 v9, v8, v3
	v_mov_b32_e32 v10, s7
	v_sub_co_u32_e32 v2, vcc, v7, v2
	v_subb_co_u32_e64 v7, s[0:1], v9, v10, vcc
	v_subrev_co_u32_e64 v9, s[0:1], s6, v2
	v_subbrev_co_u32_e64 v7, s[0:1], 0, v7, s[0:1]
	v_cmp_le_u32_e64 s[0:1], s7, v7
	v_cndmask_b32_e64 v10, 0, -1, s[0:1]
	v_cmp_le_u32_e64 s[0:1], s6, v9
	v_cndmask_b32_e64 v9, 0, -1, s[0:1]
	v_cmp_eq_u32_e64 s[0:1], s7, v7
	v_cndmask_b32_e64 v7, v10, v9, s[0:1]
	v_add_co_u32_e64 v9, s[0:1], 2, v4
	v_subb_co_u32_e32 v3, vcc, v8, v3, vcc
	v_addc_co_u32_e64 v10, s[0:1], 0, v5, s[0:1]
	v_cmp_le_u32_e32 vcc, s7, v3
	v_add_co_u32_e64 v11, s[0:1], 1, v4
	v_cndmask_b32_e64 v8, 0, -1, vcc
	v_cmp_le_u32_e32 vcc, s6, v2
	v_addc_co_u32_e64 v12, s[0:1], 0, v5, s[0:1]
	v_cndmask_b32_e64 v2, 0, -1, vcc
	v_cmp_eq_u32_e32 vcc, s7, v3
	v_cmp_ne_u32_e64 s[0:1], 0, v7
	v_cndmask_b32_e32 v2, v8, v2, vcc
	v_cndmask_b32_e64 v7, v12, v10, s[0:1]
	v_cmp_ne_u32_e32 vcc, 0, v2
	v_cndmask_b32_e64 v3, v11, v9, s[0:1]
	v_cndmask_b32_e32 v2, v5, v7, vcc
	v_cndmask_b32_e32 v3, v4, v3, vcc
	v_xor_b32_e32 v4, s4, v6
	v_xor_b32_e32 v5, v2, v4
	;; [unrolled: 1-line block ×3, first 2 shown]
	v_sub_co_u32_e32 v2, vcc, v2, v4
	v_subb_co_u32_e32 v3, vcc, v5, v4, vcc
.LBB70_3:
	s_andn2_saveexec_b64 s[0:1], s[2:3]
	s_cbranch_execz .LBB70_5
; %bb.4:
	v_cvt_f32_u32_e32 v2, s16
	s_sub_i32 s2, 0, s16
	v_rcp_iflag_f32_e32 v2, v2
	v_mul_f32_e32 v2, 0x4f7ffffe, v2
	v_cvt_u32_f32_e32 v2, v2
	v_mul_lo_u32 v3, s2, v2
	v_mul_hi_u32 v3, v2, v3
	v_add_u32_e32 v2, v2, v3
	v_mul_hi_u32 v2, v0, v2
	v_mul_lo_u32 v3, v2, s16
	v_add_u32_e32 v4, 1, v2
	v_sub_u32_e32 v3, v0, v3
	v_subrev_u32_e32 v5, s16, v3
	v_cmp_le_u32_e32 vcc, s16, v3
	v_cndmask_b32_e32 v3, v3, v5, vcc
	v_cndmask_b32_e32 v2, v2, v4, vcc
	v_add_u32_e32 v4, 1, v2
	v_cmp_le_u32_e32 vcc, s16, v3
	v_cndmask_b32_e32 v2, v2, v4, vcc
	v_mov_b32_e32 v3, 0
.LBB70_5:
	s_or_b64 exec, exec, s[0:1]
	v_mul_lo_u32 v6, v3, s16
	v_mul_lo_u32 v7, v2, s17
	v_mad_u64_u32 v[4:5], s[0:1], v2, s16, 0
	s_cmp_eq_u64 s[18:19], s[20:21]
	v_add3_u32 v5, v5, v7, v6
	v_sub_co_u32_e32 v8, vcc, v0, v4
	v_subb_co_u32_e32 v9, vcc, v1, v5, vcc
	v_mad_u64_u32 v[6:7], s[0:1], v2, s18, v[8:9]
	v_mul_lo_u32 v4, v2, s19
	v_mul_lo_u32 v5, v3, s18
	v_add3_u32 v7, v5, v7, v4
	v_mov_b32_e32 v4, v6
	v_mov_b32_e32 v5, v7
	s_cbranch_scc1 .LBB70_7
; %bb.6:
	v_mad_u64_u32 v[4:5], s[0:1], v2, s20, v[8:9]
	v_mul_lo_u32 v2, v2, s21
	v_mul_lo_u32 v3, v3, s20
	v_add3_u32 v5, v3, v5, v2
.LBB70_7:
	v_lshlrev_b64 v[2:3], 2, v[6:7]
	v_mov_b32_e32 v6, s9
	v_add_co_u32_e32 v2, vcc, s8, v2
	v_addc_co_u32_e32 v3, vcc, v6, v3, vcc
	global_load_dword v6, v[2:3], off
	v_lshlrev_b64 v[2:3], 2, v[4:5]
	v_mov_b32_e32 v4, s11
	v_add_co_u32_e32 v2, vcc, s10, v2
	v_addc_co_u32_e32 v3, vcc, v4, v3, vcc
	global_load_dword v2, v[2:3], off
	s_mov_b32 s0, 0xbfb8aa3b
	s_mov_b32 s1, 0xc2b17218
	v_lshlrev_b64 v[0:1], 2, v[0:1]
	s_waitcnt vmcnt(1)
	v_mul_f32_e32 v3, 0xbfb8aa3b, v6
	v_fma_f32 v4, v6, s0, -v3
	v_rndne_f32_e32 v5, v3
	v_fmac_f32_e32 v4, 0xb2a5705f, v6
	v_sub_f32_e32 v3, v3, v5
	v_add_f32_e32 v3, v3, v4
	v_cvt_i32_f32_e32 v5, v5
	v_exp_f32_e32 v3, v3
	s_mov_b32 s0, 0x42ce8ed0
	v_cmp_nlt_f32_e32 vcc, s0, v6
	v_mov_b32_e32 v4, 0x7f800000
	v_ldexp_f32 v3, v3, v5
	v_cndmask_b32_e32 v3, 0, v3, vcc
	v_cmp_ngt_f32_e32 vcc, s1, v6
	v_cndmask_b32_e32 v3, v4, v3, vcc
	v_add_f32_e32 v3, 1.0, v3
	v_div_scale_f32 v4, s[0:1], v3, v3, 1.0
	v_div_scale_f32 v5, vcc, 1.0, v3, 1.0
	v_rcp_f32_e32 v6, v4
	v_fma_f32 v7, -v4, v6, 1.0
	v_fmac_f32_e32 v6, v7, v6
	v_mul_f32_e32 v7, v5, v6
	v_fma_f32 v8, -v4, v7, v5
	v_fmac_f32_e32 v7, v8, v6
	v_fma_f32 v4, -v4, v7, v5
	v_div_fmas_f32 v4, v4, v6, v7
	v_mov_b32_e32 v5, s13
	v_add_co_u32_e32 v0, vcc, s12, v0
	v_addc_co_u32_e32 v1, vcc, v5, v1, vcc
	v_div_fixup_f32 v3, v4, v3, 1.0
	s_waitcnt vmcnt(0)
	v_mul_f32_e32 v2, v2, v3
	global_store_dword v[0:1], v2, off
.LBB70_8:
	s_endpgm
	.section	.rodata,"a",@progbits
	.p2align	6, 0x0
	.amdhsa_kernel _ZL21unary_gated_op_kernelIXadL_ZL10op_sigmoidfEEfEvPKT0_S2_PS0_llll
		.amdhsa_group_segment_fixed_size 0
		.amdhsa_private_segment_fixed_size 0
		.amdhsa_kernarg_size 312
		.amdhsa_user_sgpr_count 6
		.amdhsa_user_sgpr_private_segment_buffer 1
		.amdhsa_user_sgpr_dispatch_ptr 0
		.amdhsa_user_sgpr_queue_ptr 0
		.amdhsa_user_sgpr_kernarg_segment_ptr 1
		.amdhsa_user_sgpr_dispatch_id 0
		.amdhsa_user_sgpr_flat_scratch_init 0
		.amdhsa_user_sgpr_private_segment_size 0
		.amdhsa_uses_dynamic_stack 0
		.amdhsa_system_sgpr_private_segment_wavefront_offset 0
		.amdhsa_system_sgpr_workgroup_id_x 1
		.amdhsa_system_sgpr_workgroup_id_y 0
		.amdhsa_system_sgpr_workgroup_id_z 0
		.amdhsa_system_sgpr_workgroup_info 0
		.amdhsa_system_vgpr_workitem_id 0
		.amdhsa_next_free_vgpr 13
		.amdhsa_next_free_sgpr 27
		.amdhsa_reserve_vcc 1
		.amdhsa_reserve_flat_scratch 0
		.amdhsa_float_round_mode_32 0
		.amdhsa_float_round_mode_16_64 0
		.amdhsa_float_denorm_mode_32 3
		.amdhsa_float_denorm_mode_16_64 3
		.amdhsa_dx10_clamp 1
		.amdhsa_ieee_mode 1
		.amdhsa_fp16_overflow 0
		.amdhsa_exception_fp_ieee_invalid_op 0
		.amdhsa_exception_fp_denorm_src 0
		.amdhsa_exception_fp_ieee_div_zero 0
		.amdhsa_exception_fp_ieee_overflow 0
		.amdhsa_exception_fp_ieee_underflow 0
		.amdhsa_exception_fp_ieee_inexact 0
		.amdhsa_exception_int_div_zero 0
	.end_amdhsa_kernel
	.section	.text._ZL21unary_gated_op_kernelIXadL_ZL10op_sigmoidfEEfEvPKT0_S2_PS0_llll,"axG",@progbits,_ZL21unary_gated_op_kernelIXadL_ZL10op_sigmoidfEEfEvPKT0_S2_PS0_llll,comdat
.Lfunc_end70:
	.size	_ZL21unary_gated_op_kernelIXadL_ZL10op_sigmoidfEEfEvPKT0_S2_PS0_llll, .Lfunc_end70-_ZL21unary_gated_op_kernelIXadL_ZL10op_sigmoidfEEfEvPKT0_S2_PS0_llll
                                        ; -- End function
	.set _ZL21unary_gated_op_kernelIXadL_ZL10op_sigmoidfEEfEvPKT0_S2_PS0_llll.num_vgpr, 13
	.set _ZL21unary_gated_op_kernelIXadL_ZL10op_sigmoidfEEfEvPKT0_S2_PS0_llll.num_agpr, 0
	.set _ZL21unary_gated_op_kernelIXadL_ZL10op_sigmoidfEEfEvPKT0_S2_PS0_llll.numbered_sgpr, 27
	.set _ZL21unary_gated_op_kernelIXadL_ZL10op_sigmoidfEEfEvPKT0_S2_PS0_llll.num_named_barrier, 0
	.set _ZL21unary_gated_op_kernelIXadL_ZL10op_sigmoidfEEfEvPKT0_S2_PS0_llll.private_seg_size, 0
	.set _ZL21unary_gated_op_kernelIXadL_ZL10op_sigmoidfEEfEvPKT0_S2_PS0_llll.uses_vcc, 1
	.set _ZL21unary_gated_op_kernelIXadL_ZL10op_sigmoidfEEfEvPKT0_S2_PS0_llll.uses_flat_scratch, 0
	.set _ZL21unary_gated_op_kernelIXadL_ZL10op_sigmoidfEEfEvPKT0_S2_PS0_llll.has_dyn_sized_stack, 0
	.set _ZL21unary_gated_op_kernelIXadL_ZL10op_sigmoidfEEfEvPKT0_S2_PS0_llll.has_recursion, 0
	.set _ZL21unary_gated_op_kernelIXadL_ZL10op_sigmoidfEEfEvPKT0_S2_PS0_llll.has_indirect_call, 0
	.section	.AMDGPU.csdata,"",@progbits
; Kernel info:
; codeLenInByte = 1212
; TotalNumSgprs: 31
; NumVgprs: 13
; ScratchSize: 0
; MemoryBound: 0
; FloatMode: 240
; IeeeMode: 1
; LDSByteSize: 0 bytes/workgroup (compile time only)
; SGPRBlocks: 3
; VGPRBlocks: 3
; NumSGPRsForWavesPerEU: 31
; NumVGPRsForWavesPerEU: 13
; Occupancy: 10
; WaveLimiterHint : 0
; COMPUTE_PGM_RSRC2:SCRATCH_EN: 0
; COMPUTE_PGM_RSRC2:USER_SGPR: 6
; COMPUTE_PGM_RSRC2:TRAP_HANDLER: 0
; COMPUTE_PGM_RSRC2:TGID_X_EN: 1
; COMPUTE_PGM_RSRC2:TGID_Y_EN: 0
; COMPUTE_PGM_RSRC2:TGID_Z_EN: 0
; COMPUTE_PGM_RSRC2:TIDIG_COMP_CNT: 0
	.section	.text._ZL21unary_gated_op_kernelIXadL_ZL11op_softplusfEE6__halfEvPKT0_S3_PS1_llll,"axG",@progbits,_ZL21unary_gated_op_kernelIXadL_ZL11op_softplusfEE6__halfEvPKT0_S3_PS1_llll,comdat
	.globl	_ZL21unary_gated_op_kernelIXadL_ZL11op_softplusfEE6__halfEvPKT0_S3_PS1_llll ; -- Begin function _ZL21unary_gated_op_kernelIXadL_ZL11op_softplusfEE6__halfEvPKT0_S3_PS1_llll
	.p2align	8
	.type	_ZL21unary_gated_op_kernelIXadL_ZL11op_softplusfEE6__halfEvPKT0_S3_PS1_llll,@function
_ZL21unary_gated_op_kernelIXadL_ZL11op_softplusfEE6__halfEvPKT0_S3_PS1_llll: ; @_ZL21unary_gated_op_kernelIXadL_ZL11op_softplusfEE6__halfEvPKT0_S3_PS1_llll
; %bb.0:
	s_load_dword s0, s[4:5], 0x44
	v_mov_b32_e32 v2, 0
	s_load_dwordx8 s[8:15], s[4:5], 0x0
	v_mov_b32_e32 v1, v2
	v_mov_b32_e32 v3, s6
	s_waitcnt lgkmcnt(0)
	s_and_b32 s0, s0, 0xffff
	v_mad_u64_u32 v[0:1], s[0:1], s0, v3, v[0:1]
	v_cmp_gt_i64_e32 vcc, s[14:15], v[0:1]
	s_and_saveexec_b64 s[0:1], vcc
	s_cbranch_execz .LBB71_8
; %bb.1:
	s_load_dwordx8 s[16:23], s[4:5], 0x20
                                        ; implicit-def: $vgpr4_vgpr5
	s_waitcnt lgkmcnt(0)
	v_or_b32_e32 v3, s17, v1
	v_cmp_ne_u64_e32 vcc, 0, v[2:3]
	s_and_saveexec_b64 s[0:1], vcc
	s_xor_b64 s[2:3], exec, s[0:1]
	s_cbranch_execz .LBB71_3
; %bb.2:
	s_ashr_i32 s4, s17, 31
	s_add_u32 s0, s16, s4
	s_mov_b32 s5, s4
	s_addc_u32 s1, s17, s4
	s_xor_b64 s[6:7], s[0:1], s[4:5]
	v_cvt_f32_u32_e32 v2, s6
	v_cvt_f32_u32_e32 v3, s7
	s_sub_u32 s5, 0, s6
	s_subb_u32 s14, 0, s7
	v_ashrrev_i32_e32 v6, 31, v1
	v_madmk_f32 v2, v3, 0x4f800000, v2
	v_rcp_f32_e32 v2, v2
	v_mul_f32_e32 v2, 0x5f7ffffc, v2
	v_mul_f32_e32 v3, 0x2f800000, v2
	v_trunc_f32_e32 v3, v3
	v_madmk_f32 v2, v3, 0xcf800000, v2
	v_cvt_u32_f32_e32 v3, v3
	v_cvt_u32_f32_e32 v2, v2
	v_readfirstlane_b32 s15, v3
	v_readfirstlane_b32 s0, v2
	s_mul_i32 s1, s5, s15
	s_mul_hi_u32 s23, s5, s0
	s_mul_i32 s22, s14, s0
	s_add_i32 s1, s23, s1
	s_add_i32 s1, s1, s22
	s_mul_i32 s24, s5, s0
	s_mul_i32 s23, s0, s1
	s_mul_hi_u32 s25, s0, s24
	s_mul_hi_u32 s22, s0, s1
	s_add_u32 s23, s25, s23
	s_addc_u32 s22, 0, s22
	s_mul_hi_u32 s26, s15, s24
	s_mul_i32 s24, s15, s24
	s_add_u32 s23, s23, s24
	s_mul_hi_u32 s25, s15, s1
	s_addc_u32 s22, s22, s26
	s_addc_u32 s23, s25, 0
	s_mul_i32 s1, s15, s1
	s_add_u32 s1, s22, s1
	s_addc_u32 s22, 0, s23
	s_add_u32 s23, s0, s1
	s_cselect_b64 s[0:1], -1, 0
	s_cmp_lg_u64 s[0:1], 0
	s_addc_u32 s15, s15, s22
	s_mul_i32 s0, s5, s15
	s_mul_hi_u32 s1, s5, s23
	s_add_i32 s0, s1, s0
	s_mul_i32 s14, s14, s23
	s_add_i32 s0, s0, s14
	s_mul_i32 s5, s5, s23
	s_mul_hi_u32 s14, s15, s5
	s_mul_i32 s22, s15, s5
	s_mul_i32 s25, s23, s0
	s_mul_hi_u32 s5, s23, s5
	s_mul_hi_u32 s24, s23, s0
	s_add_u32 s5, s5, s25
	s_addc_u32 s24, 0, s24
	s_add_u32 s5, s5, s22
	s_mul_hi_u32 s1, s15, s0
	s_addc_u32 s5, s24, s14
	s_addc_u32 s1, s1, 0
	s_mul_i32 s0, s15, s0
	s_add_u32 s0, s5, s0
	s_addc_u32 s5, 0, s1
	s_add_u32 s14, s23, s0
	s_cselect_b64 s[0:1], -1, 0
	s_cmp_lg_u64 s[0:1], 0
	v_add_co_u32_e32 v2, vcc, v0, v6
	s_addc_u32 s5, s15, s5
	v_xor_b32_e32 v7, v2, v6
	v_mad_u64_u32 v[2:3], s[0:1], v7, s5, 0
	v_mul_hi_u32 v5, v7, s14
	v_addc_co_u32_e32 v4, vcc, v1, v6, vcc
	v_xor_b32_e32 v8, v4, v6
	v_add_co_u32_e32 v9, vcc, v5, v2
	v_addc_co_u32_e32 v10, vcc, 0, v3, vcc
	v_mad_u64_u32 v[2:3], s[0:1], v8, s14, 0
	v_mad_u64_u32 v[4:5], s[0:1], v8, s5, 0
	v_add_co_u32_e32 v2, vcc, v9, v2
	v_addc_co_u32_e32 v2, vcc, v10, v3, vcc
	v_addc_co_u32_e32 v3, vcc, 0, v5, vcc
	v_add_co_u32_e32 v4, vcc, v2, v4
	v_addc_co_u32_e32 v5, vcc, 0, v3, vcc
	v_mul_lo_u32 v9, s7, v4
	v_mul_lo_u32 v10, s6, v5
	v_mad_u64_u32 v[2:3], s[0:1], s6, v4, 0
	v_add3_u32 v3, v3, v10, v9
	v_sub_u32_e32 v9, v8, v3
	v_mov_b32_e32 v10, s7
	v_sub_co_u32_e32 v2, vcc, v7, v2
	v_subb_co_u32_e64 v7, s[0:1], v9, v10, vcc
	v_subrev_co_u32_e64 v9, s[0:1], s6, v2
	v_subbrev_co_u32_e64 v7, s[0:1], 0, v7, s[0:1]
	v_cmp_le_u32_e64 s[0:1], s7, v7
	v_cndmask_b32_e64 v10, 0, -1, s[0:1]
	v_cmp_le_u32_e64 s[0:1], s6, v9
	v_cndmask_b32_e64 v9, 0, -1, s[0:1]
	v_cmp_eq_u32_e64 s[0:1], s7, v7
	v_cndmask_b32_e64 v7, v10, v9, s[0:1]
	v_add_co_u32_e64 v9, s[0:1], 2, v4
	v_subb_co_u32_e32 v3, vcc, v8, v3, vcc
	v_addc_co_u32_e64 v10, s[0:1], 0, v5, s[0:1]
	v_cmp_le_u32_e32 vcc, s7, v3
	v_add_co_u32_e64 v11, s[0:1], 1, v4
	v_cndmask_b32_e64 v8, 0, -1, vcc
	v_cmp_le_u32_e32 vcc, s6, v2
	v_addc_co_u32_e64 v12, s[0:1], 0, v5, s[0:1]
	v_cndmask_b32_e64 v2, 0, -1, vcc
	v_cmp_eq_u32_e32 vcc, s7, v3
	v_cmp_ne_u32_e64 s[0:1], 0, v7
	v_cndmask_b32_e32 v2, v8, v2, vcc
	v_cndmask_b32_e64 v7, v12, v10, s[0:1]
	v_cmp_ne_u32_e32 vcc, 0, v2
	v_cndmask_b32_e64 v3, v11, v9, s[0:1]
	v_cndmask_b32_e32 v2, v5, v7, vcc
	v_cndmask_b32_e32 v3, v4, v3, vcc
	v_xor_b32_e32 v5, s4, v6
	v_xor_b32_e32 v3, v3, v5
	;; [unrolled: 1-line block ×3, first 2 shown]
	v_sub_co_u32_e32 v4, vcc, v3, v5
	v_subb_co_u32_e32 v5, vcc, v2, v5, vcc
.LBB71_3:
	s_andn2_saveexec_b64 s[0:1], s[2:3]
	s_cbranch_execz .LBB71_5
; %bb.4:
	v_cvt_f32_u32_e32 v2, s16
	s_sub_i32 s2, 0, s16
	v_rcp_iflag_f32_e32 v2, v2
	v_mul_f32_e32 v2, 0x4f7ffffe, v2
	v_cvt_u32_f32_e32 v2, v2
	v_mul_lo_u32 v3, s2, v2
	v_mul_hi_u32 v3, v2, v3
	v_add_u32_e32 v2, v2, v3
	v_mul_hi_u32 v2, v0, v2
	v_mul_lo_u32 v3, v2, s16
	v_add_u32_e32 v4, 1, v2
	v_sub_u32_e32 v3, v0, v3
	v_subrev_u32_e32 v5, s16, v3
	v_cmp_le_u32_e32 vcc, s16, v3
	v_cndmask_b32_e32 v3, v3, v5, vcc
	v_cndmask_b32_e32 v2, v2, v4, vcc
	v_add_u32_e32 v4, 1, v2
	v_cmp_le_u32_e32 vcc, s16, v3
	v_cndmask_b32_e32 v4, v2, v4, vcc
	v_mov_b32_e32 v5, 0
.LBB71_5:
	s_or_b64 exec, exec, s[0:1]
	v_mul_lo_u32 v6, v5, s16
	v_mul_lo_u32 v7, v4, s17
	v_mad_u64_u32 v[2:3], s[0:1], v4, s16, 0
	s_cmp_eq_u64 s[18:19], s[20:21]
	v_add3_u32 v3, v3, v7, v6
	v_sub_co_u32_e32 v8, vcc, v0, v2
	v_subb_co_u32_e32 v9, vcc, v1, v3, vcc
	v_mad_u64_u32 v[6:7], s[0:1], v4, s18, v[8:9]
	v_mul_lo_u32 v2, v4, s19
	v_mul_lo_u32 v3, v5, s18
	v_add3_u32 v7, v3, v7, v2
	v_mov_b32_e32 v2, v6
	v_mov_b32_e32 v3, v7
	s_cbranch_scc1 .LBB71_7
; %bb.6:
	v_mad_u64_u32 v[2:3], s[0:1], v4, s20, v[8:9]
	v_mul_lo_u32 v4, v4, s21
	v_mul_lo_u32 v5, v5, s20
	v_add3_u32 v3, v5, v3, v4
.LBB71_7:
	v_lshlrev_b64 v[4:5], 1, v[6:7]
	v_mov_b32_e32 v6, s9
	v_add_co_u32_e32 v4, vcc, s8, v4
	v_addc_co_u32_e32 v5, vcc, v6, v5, vcc
	global_load_ushort v4, v[4:5], off
	v_lshlrev_b64 v[2:3], 1, v[2:3]
	v_mov_b32_e32 v5, s11
	v_add_co_u32_e32 v2, vcc, s10, v2
	v_addc_co_u32_e32 v3, vcc, v5, v3, vcc
	global_load_ushort v2, v[2:3], off
	s_mov_b32 s1, 0x3fb8aa3b
	s_mov_b32 s2, 0x32a5705f
	;; [unrolled: 1-line block ×4, first 2 shown]
	v_mov_b32_e32 v5, 0x7f800000
	s_mov_b32 s5, 0x7f800000
	s_movk_i32 s0, 0x4d00
	v_lshlrev_b64 v[0:1], 1, v[0:1]
	s_waitcnt vmcnt(1)
	v_cvt_f32_f16_e32 v3, v4
	v_mul_f32_e32 v6, 0x3fb8aa3b, v3
	v_fma_mix_f32 v7, v4, s1, -v6 op_sel_hi:[1,0,0]
	v_rndne_f32_e32 v8, v6
	v_fma_mix_f32 v7, v4, s2, v7 op_sel_hi:[1,0,0]
	v_sub_f32_e32 v6, v6, v8
	v_add_f32_e32 v6, v6, v7
	v_cvt_i32_f32_e32 v8, v8
	v_exp_f32_e32 v6, v6
	v_cmp_ngt_f32_e32 vcc, s3, v3
	s_mov_b32 s1, 0x800000
	s_mov_b32 s2, 0x3f317217
	v_ldexp_f32 v6, v6, v8
	v_cndmask_b32_e32 v6, 0, v6, vcc
	v_cmp_nlt_f32_e32 vcc, s4, v3
	v_cndmask_b32_e32 v5, v5, v6, vcc
	v_add_f32_e32 v5, 1.0, v5
	v_cmp_gt_f32_e32 vcc, s1, v5
	v_cndmask_b32_e64 v6, 0, 32, vcc
	v_ldexp_f32 v5, v5, v6
	v_log_f32_e32 v5, v5
	v_mov_b32_e32 v7, 0x41b17218
	v_cndmask_b32_e32 v7, 0, v7, vcc
	v_mov_b32_e32 v6, s13
	v_mul_f32_e32 v8, 0x3f317217, v5
	v_fma_f32 v8, v5, s2, -v8
	v_fmac_f32_e32 v8, 0x3377d1cf, v5
	v_fmac_f32_e32 v8, 0x3f317217, v5
	v_cmp_lt_f32_e64 vcc, |v5|, s5
	v_cndmask_b32_e32 v5, v5, v8, vcc
	v_sub_f32_e32 v5, v5, v7
	v_cmp_lt_f16_e32 vcc, s0, v4
	v_cndmask_b32_e32 v3, v5, v3, vcc
	v_add_co_u32_e32 v0, vcc, s12, v0
	s_waitcnt vmcnt(0)
	v_fma_mixlo_f16 v2, v3, v2, 0 op_sel_hi:[0,1,0]
	v_addc_co_u32_e32 v1, vcc, v6, v1, vcc
	global_store_short v[0:1], v2, off
.LBB71_8:
	s_endpgm
	.section	.rodata,"a",@progbits
	.p2align	6, 0x0
	.amdhsa_kernel _ZL21unary_gated_op_kernelIXadL_ZL11op_softplusfEE6__halfEvPKT0_S3_PS1_llll
		.amdhsa_group_segment_fixed_size 0
		.amdhsa_private_segment_fixed_size 0
		.amdhsa_kernarg_size 312
		.amdhsa_user_sgpr_count 6
		.amdhsa_user_sgpr_private_segment_buffer 1
		.amdhsa_user_sgpr_dispatch_ptr 0
		.amdhsa_user_sgpr_queue_ptr 0
		.amdhsa_user_sgpr_kernarg_segment_ptr 1
		.amdhsa_user_sgpr_dispatch_id 0
		.amdhsa_user_sgpr_flat_scratch_init 0
		.amdhsa_user_sgpr_private_segment_size 0
		.amdhsa_uses_dynamic_stack 0
		.amdhsa_system_sgpr_private_segment_wavefront_offset 0
		.amdhsa_system_sgpr_workgroup_id_x 1
		.amdhsa_system_sgpr_workgroup_id_y 0
		.amdhsa_system_sgpr_workgroup_id_z 0
		.amdhsa_system_sgpr_workgroup_info 0
		.amdhsa_system_vgpr_workitem_id 0
		.amdhsa_next_free_vgpr 13
		.amdhsa_next_free_sgpr 27
		.amdhsa_reserve_vcc 1
		.amdhsa_reserve_flat_scratch 0
		.amdhsa_float_round_mode_32 0
		.amdhsa_float_round_mode_16_64 0
		.amdhsa_float_denorm_mode_32 3
		.amdhsa_float_denorm_mode_16_64 3
		.amdhsa_dx10_clamp 1
		.amdhsa_ieee_mode 1
		.amdhsa_fp16_overflow 0
		.amdhsa_exception_fp_ieee_invalid_op 0
		.amdhsa_exception_fp_denorm_src 0
		.amdhsa_exception_fp_ieee_div_zero 0
		.amdhsa_exception_fp_ieee_overflow 0
		.amdhsa_exception_fp_ieee_underflow 0
		.amdhsa_exception_fp_ieee_inexact 0
		.amdhsa_exception_int_div_zero 0
	.end_amdhsa_kernel
	.section	.text._ZL21unary_gated_op_kernelIXadL_ZL11op_softplusfEE6__halfEvPKT0_S3_PS1_llll,"axG",@progbits,_ZL21unary_gated_op_kernelIXadL_ZL11op_softplusfEE6__halfEvPKT0_S3_PS1_llll,comdat
.Lfunc_end71:
	.size	_ZL21unary_gated_op_kernelIXadL_ZL11op_softplusfEE6__halfEvPKT0_S3_PS1_llll, .Lfunc_end71-_ZL21unary_gated_op_kernelIXadL_ZL11op_softplusfEE6__halfEvPKT0_S3_PS1_llll
                                        ; -- End function
	.set _ZL21unary_gated_op_kernelIXadL_ZL11op_softplusfEE6__halfEvPKT0_S3_PS1_llll.num_vgpr, 13
	.set _ZL21unary_gated_op_kernelIXadL_ZL11op_softplusfEE6__halfEvPKT0_S3_PS1_llll.num_agpr, 0
	.set _ZL21unary_gated_op_kernelIXadL_ZL11op_softplusfEE6__halfEvPKT0_S3_PS1_llll.numbered_sgpr, 27
	.set _ZL21unary_gated_op_kernelIXadL_ZL11op_softplusfEE6__halfEvPKT0_S3_PS1_llll.num_named_barrier, 0
	.set _ZL21unary_gated_op_kernelIXadL_ZL11op_softplusfEE6__halfEvPKT0_S3_PS1_llll.private_seg_size, 0
	.set _ZL21unary_gated_op_kernelIXadL_ZL11op_softplusfEE6__halfEvPKT0_S3_PS1_llll.uses_vcc, 1
	.set _ZL21unary_gated_op_kernelIXadL_ZL11op_softplusfEE6__halfEvPKT0_S3_PS1_llll.uses_flat_scratch, 0
	.set _ZL21unary_gated_op_kernelIXadL_ZL11op_softplusfEE6__halfEvPKT0_S3_PS1_llll.has_dyn_sized_stack, 0
	.set _ZL21unary_gated_op_kernelIXadL_ZL11op_softplusfEE6__halfEvPKT0_S3_PS1_llll.has_recursion, 0
	.set _ZL21unary_gated_op_kernelIXadL_ZL11op_softplusfEE6__halfEvPKT0_S3_PS1_llll.has_indirect_call, 0
	.section	.AMDGPU.csdata,"",@progbits
; Kernel info:
; codeLenInByte = 1276
; TotalNumSgprs: 31
; NumVgprs: 13
; ScratchSize: 0
; MemoryBound: 0
; FloatMode: 240
; IeeeMode: 1
; LDSByteSize: 0 bytes/workgroup (compile time only)
; SGPRBlocks: 3
; VGPRBlocks: 3
; NumSGPRsForWavesPerEU: 31
; NumVGPRsForWavesPerEU: 13
; Occupancy: 10
; WaveLimiterHint : 0
; COMPUTE_PGM_RSRC2:SCRATCH_EN: 0
; COMPUTE_PGM_RSRC2:USER_SGPR: 6
; COMPUTE_PGM_RSRC2:TRAP_HANDLER: 0
; COMPUTE_PGM_RSRC2:TGID_X_EN: 1
; COMPUTE_PGM_RSRC2:TGID_Y_EN: 0
; COMPUTE_PGM_RSRC2:TGID_Z_EN: 0
; COMPUTE_PGM_RSRC2:TIDIG_COMP_CNT: 0
	.section	.text._ZL21unary_gated_op_kernelIXadL_ZL11op_softplusfEEfEvPKT0_S2_PS0_llll,"axG",@progbits,_ZL21unary_gated_op_kernelIXadL_ZL11op_softplusfEEfEvPKT0_S2_PS0_llll,comdat
	.globl	_ZL21unary_gated_op_kernelIXadL_ZL11op_softplusfEEfEvPKT0_S2_PS0_llll ; -- Begin function _ZL21unary_gated_op_kernelIXadL_ZL11op_softplusfEEfEvPKT0_S2_PS0_llll
	.p2align	8
	.type	_ZL21unary_gated_op_kernelIXadL_ZL11op_softplusfEEfEvPKT0_S2_PS0_llll,@function
_ZL21unary_gated_op_kernelIXadL_ZL11op_softplusfEEfEvPKT0_S2_PS0_llll: ; @_ZL21unary_gated_op_kernelIXadL_ZL11op_softplusfEEfEvPKT0_S2_PS0_llll
; %bb.0:
	s_load_dword s0, s[4:5], 0x44
	v_mov_b32_e32 v2, 0
	s_load_dwordx8 s[8:15], s[4:5], 0x0
	v_mov_b32_e32 v1, v2
	v_mov_b32_e32 v3, s6
	s_waitcnt lgkmcnt(0)
	s_and_b32 s0, s0, 0xffff
	v_mad_u64_u32 v[0:1], s[0:1], s0, v3, v[0:1]
	v_cmp_gt_i64_e32 vcc, s[14:15], v[0:1]
	s_and_saveexec_b64 s[0:1], vcc
	s_cbranch_execz .LBB72_8
; %bb.1:
	s_load_dwordx8 s[16:23], s[4:5], 0x20
                                        ; implicit-def: $vgpr4_vgpr5
	s_waitcnt lgkmcnt(0)
	v_or_b32_e32 v3, s17, v1
	v_cmp_ne_u64_e32 vcc, 0, v[2:3]
	s_and_saveexec_b64 s[0:1], vcc
	s_xor_b64 s[2:3], exec, s[0:1]
	s_cbranch_execz .LBB72_3
; %bb.2:
	s_ashr_i32 s4, s17, 31
	s_add_u32 s0, s16, s4
	s_mov_b32 s5, s4
	s_addc_u32 s1, s17, s4
	s_xor_b64 s[6:7], s[0:1], s[4:5]
	v_cvt_f32_u32_e32 v2, s6
	v_cvt_f32_u32_e32 v3, s7
	s_sub_u32 s5, 0, s6
	s_subb_u32 s14, 0, s7
	v_ashrrev_i32_e32 v6, 31, v1
	v_madmk_f32 v2, v3, 0x4f800000, v2
	v_rcp_f32_e32 v2, v2
	v_mul_f32_e32 v2, 0x5f7ffffc, v2
	v_mul_f32_e32 v3, 0x2f800000, v2
	v_trunc_f32_e32 v3, v3
	v_madmk_f32 v2, v3, 0xcf800000, v2
	v_cvt_u32_f32_e32 v3, v3
	v_cvt_u32_f32_e32 v2, v2
	v_readfirstlane_b32 s15, v3
	v_readfirstlane_b32 s0, v2
	s_mul_i32 s1, s5, s15
	s_mul_hi_u32 s23, s5, s0
	s_mul_i32 s22, s14, s0
	s_add_i32 s1, s23, s1
	s_add_i32 s1, s1, s22
	s_mul_i32 s24, s5, s0
	s_mul_i32 s23, s0, s1
	s_mul_hi_u32 s25, s0, s24
	s_mul_hi_u32 s22, s0, s1
	s_add_u32 s23, s25, s23
	s_addc_u32 s22, 0, s22
	s_mul_hi_u32 s26, s15, s24
	s_mul_i32 s24, s15, s24
	s_add_u32 s23, s23, s24
	s_mul_hi_u32 s25, s15, s1
	s_addc_u32 s22, s22, s26
	s_addc_u32 s23, s25, 0
	s_mul_i32 s1, s15, s1
	s_add_u32 s1, s22, s1
	s_addc_u32 s22, 0, s23
	s_add_u32 s23, s0, s1
	s_cselect_b64 s[0:1], -1, 0
	s_cmp_lg_u64 s[0:1], 0
	s_addc_u32 s15, s15, s22
	s_mul_i32 s0, s5, s15
	s_mul_hi_u32 s1, s5, s23
	s_add_i32 s0, s1, s0
	s_mul_i32 s14, s14, s23
	s_add_i32 s0, s0, s14
	s_mul_i32 s5, s5, s23
	s_mul_hi_u32 s14, s15, s5
	s_mul_i32 s22, s15, s5
	s_mul_i32 s25, s23, s0
	s_mul_hi_u32 s5, s23, s5
	s_mul_hi_u32 s24, s23, s0
	s_add_u32 s5, s5, s25
	s_addc_u32 s24, 0, s24
	s_add_u32 s5, s5, s22
	s_mul_hi_u32 s1, s15, s0
	s_addc_u32 s5, s24, s14
	s_addc_u32 s1, s1, 0
	s_mul_i32 s0, s15, s0
	s_add_u32 s0, s5, s0
	s_addc_u32 s5, 0, s1
	s_add_u32 s14, s23, s0
	s_cselect_b64 s[0:1], -1, 0
	s_cmp_lg_u64 s[0:1], 0
	v_add_co_u32_e32 v2, vcc, v0, v6
	s_addc_u32 s5, s15, s5
	v_xor_b32_e32 v7, v2, v6
	v_mad_u64_u32 v[2:3], s[0:1], v7, s5, 0
	v_mul_hi_u32 v5, v7, s14
	v_addc_co_u32_e32 v4, vcc, v1, v6, vcc
	v_xor_b32_e32 v8, v4, v6
	v_add_co_u32_e32 v9, vcc, v5, v2
	v_addc_co_u32_e32 v10, vcc, 0, v3, vcc
	v_mad_u64_u32 v[2:3], s[0:1], v8, s14, 0
	v_mad_u64_u32 v[4:5], s[0:1], v8, s5, 0
	v_add_co_u32_e32 v2, vcc, v9, v2
	v_addc_co_u32_e32 v2, vcc, v10, v3, vcc
	v_addc_co_u32_e32 v3, vcc, 0, v5, vcc
	v_add_co_u32_e32 v4, vcc, v2, v4
	v_addc_co_u32_e32 v5, vcc, 0, v3, vcc
	v_mul_lo_u32 v9, s7, v4
	v_mul_lo_u32 v10, s6, v5
	v_mad_u64_u32 v[2:3], s[0:1], s6, v4, 0
	v_add3_u32 v3, v3, v10, v9
	v_sub_u32_e32 v9, v8, v3
	v_mov_b32_e32 v10, s7
	v_sub_co_u32_e32 v2, vcc, v7, v2
	v_subb_co_u32_e64 v7, s[0:1], v9, v10, vcc
	v_subrev_co_u32_e64 v9, s[0:1], s6, v2
	v_subbrev_co_u32_e64 v7, s[0:1], 0, v7, s[0:1]
	v_cmp_le_u32_e64 s[0:1], s7, v7
	v_cndmask_b32_e64 v10, 0, -1, s[0:1]
	v_cmp_le_u32_e64 s[0:1], s6, v9
	v_cndmask_b32_e64 v9, 0, -1, s[0:1]
	v_cmp_eq_u32_e64 s[0:1], s7, v7
	v_cndmask_b32_e64 v7, v10, v9, s[0:1]
	v_add_co_u32_e64 v9, s[0:1], 2, v4
	v_subb_co_u32_e32 v3, vcc, v8, v3, vcc
	v_addc_co_u32_e64 v10, s[0:1], 0, v5, s[0:1]
	v_cmp_le_u32_e32 vcc, s7, v3
	v_add_co_u32_e64 v11, s[0:1], 1, v4
	v_cndmask_b32_e64 v8, 0, -1, vcc
	v_cmp_le_u32_e32 vcc, s6, v2
	v_addc_co_u32_e64 v12, s[0:1], 0, v5, s[0:1]
	v_cndmask_b32_e64 v2, 0, -1, vcc
	v_cmp_eq_u32_e32 vcc, s7, v3
	v_cmp_ne_u32_e64 s[0:1], 0, v7
	v_cndmask_b32_e32 v2, v8, v2, vcc
	v_cndmask_b32_e64 v7, v12, v10, s[0:1]
	v_cmp_ne_u32_e32 vcc, 0, v2
	v_cndmask_b32_e64 v3, v11, v9, s[0:1]
	v_cndmask_b32_e32 v2, v5, v7, vcc
	v_cndmask_b32_e32 v3, v4, v3, vcc
	v_xor_b32_e32 v5, s4, v6
	v_xor_b32_e32 v3, v3, v5
	;; [unrolled: 1-line block ×3, first 2 shown]
	v_sub_co_u32_e32 v4, vcc, v3, v5
	v_subb_co_u32_e32 v5, vcc, v2, v5, vcc
.LBB72_3:
	s_andn2_saveexec_b64 s[0:1], s[2:3]
	s_cbranch_execz .LBB72_5
; %bb.4:
	v_cvt_f32_u32_e32 v2, s16
	s_sub_i32 s2, 0, s16
	v_rcp_iflag_f32_e32 v2, v2
	v_mul_f32_e32 v2, 0x4f7ffffe, v2
	v_cvt_u32_f32_e32 v2, v2
	v_mul_lo_u32 v3, s2, v2
	v_mul_hi_u32 v3, v2, v3
	v_add_u32_e32 v2, v2, v3
	v_mul_hi_u32 v2, v0, v2
	v_mul_lo_u32 v3, v2, s16
	v_add_u32_e32 v4, 1, v2
	v_sub_u32_e32 v3, v0, v3
	v_subrev_u32_e32 v5, s16, v3
	v_cmp_le_u32_e32 vcc, s16, v3
	v_cndmask_b32_e32 v3, v3, v5, vcc
	v_cndmask_b32_e32 v2, v2, v4, vcc
	v_add_u32_e32 v4, 1, v2
	v_cmp_le_u32_e32 vcc, s16, v3
	v_cndmask_b32_e32 v4, v2, v4, vcc
	v_mov_b32_e32 v5, 0
.LBB72_5:
	s_or_b64 exec, exec, s[0:1]
	v_mul_lo_u32 v6, v5, s16
	v_mul_lo_u32 v7, v4, s17
	v_mad_u64_u32 v[2:3], s[0:1], v4, s16, 0
	s_cmp_eq_u64 s[18:19], s[20:21]
	v_add3_u32 v3, v3, v7, v6
	v_sub_co_u32_e32 v8, vcc, v0, v2
	v_subb_co_u32_e32 v9, vcc, v1, v3, vcc
	v_mad_u64_u32 v[6:7], s[0:1], v4, s18, v[8:9]
	v_mul_lo_u32 v2, v4, s19
	v_mul_lo_u32 v3, v5, s18
	v_add3_u32 v7, v3, v7, v2
	v_mov_b32_e32 v2, v6
	v_mov_b32_e32 v3, v7
	s_cbranch_scc1 .LBB72_7
; %bb.6:
	v_mad_u64_u32 v[2:3], s[0:1], v4, s20, v[8:9]
	v_mul_lo_u32 v4, v4, s21
	v_mul_lo_u32 v5, v5, s20
	v_add3_u32 v3, v5, v3, v4
.LBB72_7:
	v_lshlrev_b64 v[4:5], 2, v[6:7]
	v_mov_b32_e32 v6, s9
	v_add_co_u32_e32 v4, vcc, s8, v4
	v_addc_co_u32_e32 v5, vcc, v6, v5, vcc
	global_load_dword v4, v[4:5], off
	v_lshlrev_b64 v[2:3], 2, v[2:3]
	v_mov_b32_e32 v5, s11
	v_add_co_u32_e32 v2, vcc, s10, v2
	v_addc_co_u32_e32 v3, vcc, v5, v3, vcc
	global_load_dword v2, v[2:3], off
	s_mov_b32 s1, 0x3fb8aa3b
	s_mov_b32 s2, 0xc2ce8ed0
	;; [unrolled: 1-line block ×3, first 2 shown]
	v_mov_b32_e32 v3, 0x7f800000
	s_mov_b32 s5, 0x3f317217
	s_mov_b32 s4, 0x7f800000
	;; [unrolled: 1-line block ×3, first 2 shown]
	v_lshlrev_b64 v[0:1], 2, v[0:1]
	s_waitcnt vmcnt(1)
	v_mul_f32_e32 v5, 0x3fb8aa3b, v4
	v_fma_f32 v6, v4, s1, -v5
	v_rndne_f32_e32 v7, v5
	v_fmac_f32_e32 v6, 0x32a5705f, v4
	v_sub_f32_e32 v5, v5, v7
	v_add_f32_e32 v5, v5, v6
	v_cvt_i32_f32_e32 v7, v7
	v_exp_f32_e32 v5, v5
	v_cmp_ngt_f32_e32 vcc, s2, v4
	s_mov_b32 s1, 0x800000
	v_mov_b32_e32 v6, 0x41b17218
	v_ldexp_f32 v5, v5, v7
	v_cndmask_b32_e32 v5, 0, v5, vcc
	v_cmp_nlt_f32_e32 vcc, s3, v4
	v_cndmask_b32_e32 v3, v3, v5, vcc
	v_add_f32_e32 v3, 1.0, v3
	v_cmp_gt_f32_e32 vcc, s1, v3
	v_cndmask_b32_e64 v5, 0, 32, vcc
	v_ldexp_f32 v3, v3, v5
	v_log_f32_e32 v3, v3
	v_cndmask_b32_e32 v6, 0, v6, vcc
	v_mov_b32_e32 v5, s13
	v_mul_f32_e32 v7, 0x3f317217, v3
	v_fma_f32 v7, v3, s5, -v7
	v_fmac_f32_e32 v7, 0x3377d1cf, v3
	v_fmac_f32_e32 v7, 0x3f317217, v3
	v_cmp_lt_f32_e64 vcc, |v3|, s4
	v_cndmask_b32_e32 v3, v3, v7, vcc
	v_sub_f32_e32 v3, v3, v6
	v_cmp_lt_f32_e32 vcc, s0, v4
	v_cndmask_b32_e32 v3, v3, v4, vcc
	v_add_co_u32_e32 v0, vcc, s12, v0
	s_waitcnt vmcnt(0)
	v_mul_f32_e32 v2, v2, v3
	v_addc_co_u32_e32 v1, vcc, v5, v1, vcc
	global_store_dword v[0:1], v2, off
.LBB72_8:
	s_endpgm
	.section	.rodata,"a",@progbits
	.p2align	6, 0x0
	.amdhsa_kernel _ZL21unary_gated_op_kernelIXadL_ZL11op_softplusfEEfEvPKT0_S2_PS0_llll
		.amdhsa_group_segment_fixed_size 0
		.amdhsa_private_segment_fixed_size 0
		.amdhsa_kernarg_size 312
		.amdhsa_user_sgpr_count 6
		.amdhsa_user_sgpr_private_segment_buffer 1
		.amdhsa_user_sgpr_dispatch_ptr 0
		.amdhsa_user_sgpr_queue_ptr 0
		.amdhsa_user_sgpr_kernarg_segment_ptr 1
		.amdhsa_user_sgpr_dispatch_id 0
		.amdhsa_user_sgpr_flat_scratch_init 0
		.amdhsa_user_sgpr_private_segment_size 0
		.amdhsa_uses_dynamic_stack 0
		.amdhsa_system_sgpr_private_segment_wavefront_offset 0
		.amdhsa_system_sgpr_workgroup_id_x 1
		.amdhsa_system_sgpr_workgroup_id_y 0
		.amdhsa_system_sgpr_workgroup_id_z 0
		.amdhsa_system_sgpr_workgroup_info 0
		.amdhsa_system_vgpr_workitem_id 0
		.amdhsa_next_free_vgpr 13
		.amdhsa_next_free_sgpr 27
		.amdhsa_reserve_vcc 1
		.amdhsa_reserve_flat_scratch 0
		.amdhsa_float_round_mode_32 0
		.amdhsa_float_round_mode_16_64 0
		.amdhsa_float_denorm_mode_32 3
		.amdhsa_float_denorm_mode_16_64 3
		.amdhsa_dx10_clamp 1
		.amdhsa_ieee_mode 1
		.amdhsa_fp16_overflow 0
		.amdhsa_exception_fp_ieee_invalid_op 0
		.amdhsa_exception_fp_denorm_src 0
		.amdhsa_exception_fp_ieee_div_zero 0
		.amdhsa_exception_fp_ieee_overflow 0
		.amdhsa_exception_fp_ieee_underflow 0
		.amdhsa_exception_fp_ieee_inexact 0
		.amdhsa_exception_int_div_zero 0
	.end_amdhsa_kernel
	.section	.text._ZL21unary_gated_op_kernelIXadL_ZL11op_softplusfEEfEvPKT0_S2_PS0_llll,"axG",@progbits,_ZL21unary_gated_op_kernelIXadL_ZL11op_softplusfEEfEvPKT0_S2_PS0_llll,comdat
.Lfunc_end72:
	.size	_ZL21unary_gated_op_kernelIXadL_ZL11op_softplusfEEfEvPKT0_S2_PS0_llll, .Lfunc_end72-_ZL21unary_gated_op_kernelIXadL_ZL11op_softplusfEEfEvPKT0_S2_PS0_llll
                                        ; -- End function
	.set _ZL21unary_gated_op_kernelIXadL_ZL11op_softplusfEEfEvPKT0_S2_PS0_llll.num_vgpr, 13
	.set _ZL21unary_gated_op_kernelIXadL_ZL11op_softplusfEEfEvPKT0_S2_PS0_llll.num_agpr, 0
	.set _ZL21unary_gated_op_kernelIXadL_ZL11op_softplusfEEfEvPKT0_S2_PS0_llll.numbered_sgpr, 27
	.set _ZL21unary_gated_op_kernelIXadL_ZL11op_softplusfEEfEvPKT0_S2_PS0_llll.num_named_barrier, 0
	.set _ZL21unary_gated_op_kernelIXadL_ZL11op_softplusfEEfEvPKT0_S2_PS0_llll.private_seg_size, 0
	.set _ZL21unary_gated_op_kernelIXadL_ZL11op_softplusfEEfEvPKT0_S2_PS0_llll.uses_vcc, 1
	.set _ZL21unary_gated_op_kernelIXadL_ZL11op_softplusfEEfEvPKT0_S2_PS0_llll.uses_flat_scratch, 0
	.set _ZL21unary_gated_op_kernelIXadL_ZL11op_softplusfEEfEvPKT0_S2_PS0_llll.has_dyn_sized_stack, 0
	.set _ZL21unary_gated_op_kernelIXadL_ZL11op_softplusfEEfEvPKT0_S2_PS0_llll.has_recursion, 0
	.set _ZL21unary_gated_op_kernelIXadL_ZL11op_softplusfEEfEvPKT0_S2_PS0_llll.has_indirect_call, 0
	.section	.AMDGPU.csdata,"",@progbits
; Kernel info:
; codeLenInByte = 1264
; TotalNumSgprs: 31
; NumVgprs: 13
; ScratchSize: 0
; MemoryBound: 0
; FloatMode: 240
; IeeeMode: 1
; LDSByteSize: 0 bytes/workgroup (compile time only)
; SGPRBlocks: 3
; VGPRBlocks: 3
; NumSGPRsForWavesPerEU: 31
; NumVGPRsForWavesPerEU: 13
; Occupancy: 10
; WaveLimiterHint : 0
; COMPUTE_PGM_RSRC2:SCRATCH_EN: 0
; COMPUTE_PGM_RSRC2:USER_SGPR: 6
; COMPUTE_PGM_RSRC2:TRAP_HANDLER: 0
; COMPUTE_PGM_RSRC2:TGID_X_EN: 1
; COMPUTE_PGM_RSRC2:TGID_Y_EN: 0
; COMPUTE_PGM_RSRC2:TGID_Z_EN: 0
; COMPUTE_PGM_RSRC2:TIDIG_COMP_CNT: 0
	.section	.text._ZL15unary_op_kernelIXadL_ZL11op_relu_sqrfEE6__halfEvPKT0_PS1_i,"axG",@progbits,_ZL15unary_op_kernelIXadL_ZL11op_relu_sqrfEE6__halfEvPKT0_PS1_i,comdat
	.globl	_ZL15unary_op_kernelIXadL_ZL11op_relu_sqrfEE6__halfEvPKT0_PS1_i ; -- Begin function _ZL15unary_op_kernelIXadL_ZL11op_relu_sqrfEE6__halfEvPKT0_PS1_i
	.p2align	8
	.type	_ZL15unary_op_kernelIXadL_ZL11op_relu_sqrfEE6__halfEvPKT0_PS1_i,@function
_ZL15unary_op_kernelIXadL_ZL11op_relu_sqrfEE6__halfEvPKT0_PS1_i: ; @_ZL15unary_op_kernelIXadL_ZL11op_relu_sqrfEE6__halfEvPKT0_PS1_i
; %bb.0:
	s_load_dword s0, s[4:5], 0x24
	s_load_dword s1, s[4:5], 0x10
	s_waitcnt lgkmcnt(0)
	s_and_b32 s0, s0, 0xffff
	s_mul_i32 s6, s6, s0
	v_add_u32_e32 v0, s6, v0
	v_cmp_gt_i32_e32 vcc, s1, v0
	s_and_saveexec_b64 s[0:1], vcc
	s_cbranch_execz .LBB73_2
; %bb.1:
	s_load_dwordx4 s[0:3], s[4:5], 0x0
	v_ashrrev_i32_e32 v1, 31, v0
	v_lshlrev_b64 v[0:1], 1, v[0:1]
	s_waitcnt lgkmcnt(0)
	v_mov_b32_e32 v3, s1
	v_add_co_u32_e32 v2, vcc, s0, v0
	v_addc_co_u32_e32 v3, vcc, v3, v1, vcc
	global_load_ushort v2, v[2:3], off
	v_mov_b32_e32 v3, s3
	v_add_co_u32_e32 v0, vcc, s2, v0
	v_addc_co_u32_e32 v1, vcc, v3, v1, vcc
	s_waitcnt vmcnt(0)
	v_cvt_f32_f16_e32 v2, v2
	v_max_f32_e32 v2, 0, v2
	v_fma_mixlo_f16 v2, v2, v2, 0
	global_store_short v[0:1], v2, off
.LBB73_2:
	s_endpgm
	.section	.rodata,"a",@progbits
	.p2align	6, 0x0
	.amdhsa_kernel _ZL15unary_op_kernelIXadL_ZL11op_relu_sqrfEE6__halfEvPKT0_PS1_i
		.amdhsa_group_segment_fixed_size 0
		.amdhsa_private_segment_fixed_size 0
		.amdhsa_kernarg_size 280
		.amdhsa_user_sgpr_count 6
		.amdhsa_user_sgpr_private_segment_buffer 1
		.amdhsa_user_sgpr_dispatch_ptr 0
		.amdhsa_user_sgpr_queue_ptr 0
		.amdhsa_user_sgpr_kernarg_segment_ptr 1
		.amdhsa_user_sgpr_dispatch_id 0
		.amdhsa_user_sgpr_flat_scratch_init 0
		.amdhsa_user_sgpr_private_segment_size 0
		.amdhsa_uses_dynamic_stack 0
		.amdhsa_system_sgpr_private_segment_wavefront_offset 0
		.amdhsa_system_sgpr_workgroup_id_x 1
		.amdhsa_system_sgpr_workgroup_id_y 0
		.amdhsa_system_sgpr_workgroup_id_z 0
		.amdhsa_system_sgpr_workgroup_info 0
		.amdhsa_system_vgpr_workitem_id 0
		.amdhsa_next_free_vgpr 4
		.amdhsa_next_free_sgpr 7
		.amdhsa_reserve_vcc 1
		.amdhsa_reserve_flat_scratch 0
		.amdhsa_float_round_mode_32 0
		.amdhsa_float_round_mode_16_64 0
		.amdhsa_float_denorm_mode_32 3
		.amdhsa_float_denorm_mode_16_64 3
		.amdhsa_dx10_clamp 1
		.amdhsa_ieee_mode 1
		.amdhsa_fp16_overflow 0
		.amdhsa_exception_fp_ieee_invalid_op 0
		.amdhsa_exception_fp_denorm_src 0
		.amdhsa_exception_fp_ieee_div_zero 0
		.amdhsa_exception_fp_ieee_overflow 0
		.amdhsa_exception_fp_ieee_underflow 0
		.amdhsa_exception_fp_ieee_inexact 0
		.amdhsa_exception_int_div_zero 0
	.end_amdhsa_kernel
	.section	.text._ZL15unary_op_kernelIXadL_ZL11op_relu_sqrfEE6__halfEvPKT0_PS1_i,"axG",@progbits,_ZL15unary_op_kernelIXadL_ZL11op_relu_sqrfEE6__halfEvPKT0_PS1_i,comdat
.Lfunc_end73:
	.size	_ZL15unary_op_kernelIXadL_ZL11op_relu_sqrfEE6__halfEvPKT0_PS1_i, .Lfunc_end73-_ZL15unary_op_kernelIXadL_ZL11op_relu_sqrfEE6__halfEvPKT0_PS1_i
                                        ; -- End function
	.set _ZL15unary_op_kernelIXadL_ZL11op_relu_sqrfEE6__halfEvPKT0_PS1_i.num_vgpr, 4
	.set _ZL15unary_op_kernelIXadL_ZL11op_relu_sqrfEE6__halfEvPKT0_PS1_i.num_agpr, 0
	.set _ZL15unary_op_kernelIXadL_ZL11op_relu_sqrfEE6__halfEvPKT0_PS1_i.numbered_sgpr, 7
	.set _ZL15unary_op_kernelIXadL_ZL11op_relu_sqrfEE6__halfEvPKT0_PS1_i.num_named_barrier, 0
	.set _ZL15unary_op_kernelIXadL_ZL11op_relu_sqrfEE6__halfEvPKT0_PS1_i.private_seg_size, 0
	.set _ZL15unary_op_kernelIXadL_ZL11op_relu_sqrfEE6__halfEvPKT0_PS1_i.uses_vcc, 1
	.set _ZL15unary_op_kernelIXadL_ZL11op_relu_sqrfEE6__halfEvPKT0_PS1_i.uses_flat_scratch, 0
	.set _ZL15unary_op_kernelIXadL_ZL11op_relu_sqrfEE6__halfEvPKT0_PS1_i.has_dyn_sized_stack, 0
	.set _ZL15unary_op_kernelIXadL_ZL11op_relu_sqrfEE6__halfEvPKT0_PS1_i.has_recursion, 0
	.set _ZL15unary_op_kernelIXadL_ZL11op_relu_sqrfEE6__halfEvPKT0_PS1_i.has_indirect_call, 0
	.section	.AMDGPU.csdata,"",@progbits
; Kernel info:
; codeLenInByte = 136
; TotalNumSgprs: 11
; NumVgprs: 4
; ScratchSize: 0
; MemoryBound: 0
; FloatMode: 240
; IeeeMode: 1
; LDSByteSize: 0 bytes/workgroup (compile time only)
; SGPRBlocks: 1
; VGPRBlocks: 0
; NumSGPRsForWavesPerEU: 11
; NumVGPRsForWavesPerEU: 4
; Occupancy: 10
; WaveLimiterHint : 0
; COMPUTE_PGM_RSRC2:SCRATCH_EN: 0
; COMPUTE_PGM_RSRC2:USER_SGPR: 6
; COMPUTE_PGM_RSRC2:TRAP_HANDLER: 0
; COMPUTE_PGM_RSRC2:TGID_X_EN: 1
; COMPUTE_PGM_RSRC2:TGID_Y_EN: 0
; COMPUTE_PGM_RSRC2:TGID_Z_EN: 0
; COMPUTE_PGM_RSRC2:TIDIG_COMP_CNT: 0
	.section	.text._ZL15unary_op_kernelIXadL_ZL11op_relu_sqrfEEfEvPKT0_PS0_i,"axG",@progbits,_ZL15unary_op_kernelIXadL_ZL11op_relu_sqrfEEfEvPKT0_PS0_i,comdat
	.globl	_ZL15unary_op_kernelIXadL_ZL11op_relu_sqrfEEfEvPKT0_PS0_i ; -- Begin function _ZL15unary_op_kernelIXadL_ZL11op_relu_sqrfEEfEvPKT0_PS0_i
	.p2align	8
	.type	_ZL15unary_op_kernelIXadL_ZL11op_relu_sqrfEEfEvPKT0_PS0_i,@function
_ZL15unary_op_kernelIXadL_ZL11op_relu_sqrfEEfEvPKT0_PS0_i: ; @_ZL15unary_op_kernelIXadL_ZL11op_relu_sqrfEEfEvPKT0_PS0_i
; %bb.0:
	s_load_dword s0, s[4:5], 0x24
	s_load_dword s1, s[4:5], 0x10
	s_waitcnt lgkmcnt(0)
	s_and_b32 s0, s0, 0xffff
	s_mul_i32 s6, s6, s0
	v_add_u32_e32 v0, s6, v0
	v_cmp_gt_i32_e32 vcc, s1, v0
	s_and_saveexec_b64 s[0:1], vcc
	s_cbranch_execz .LBB74_2
; %bb.1:
	s_load_dwordx4 s[0:3], s[4:5], 0x0
	v_ashrrev_i32_e32 v1, 31, v0
	v_lshlrev_b64 v[0:1], 2, v[0:1]
	s_waitcnt lgkmcnt(0)
	v_mov_b32_e32 v3, s1
	v_add_co_u32_e32 v2, vcc, s0, v0
	v_addc_co_u32_e32 v3, vcc, v3, v1, vcc
	global_load_dword v2, v[2:3], off
	v_mov_b32_e32 v3, s3
	v_add_co_u32_e32 v0, vcc, s2, v0
	v_addc_co_u32_e32 v1, vcc, v3, v1, vcc
	s_waitcnt vmcnt(0)
	v_max_f32_e32 v2, v2, v2
	v_max_f32_e32 v2, 0, v2
	v_mul_f32_e32 v2, v2, v2
	global_store_dword v[0:1], v2, off
.LBB74_2:
	s_endpgm
	.section	.rodata,"a",@progbits
	.p2align	6, 0x0
	.amdhsa_kernel _ZL15unary_op_kernelIXadL_ZL11op_relu_sqrfEEfEvPKT0_PS0_i
		.amdhsa_group_segment_fixed_size 0
		.amdhsa_private_segment_fixed_size 0
		.amdhsa_kernarg_size 280
		.amdhsa_user_sgpr_count 6
		.amdhsa_user_sgpr_private_segment_buffer 1
		.amdhsa_user_sgpr_dispatch_ptr 0
		.amdhsa_user_sgpr_queue_ptr 0
		.amdhsa_user_sgpr_kernarg_segment_ptr 1
		.amdhsa_user_sgpr_dispatch_id 0
		.amdhsa_user_sgpr_flat_scratch_init 0
		.amdhsa_user_sgpr_private_segment_size 0
		.amdhsa_uses_dynamic_stack 0
		.amdhsa_system_sgpr_private_segment_wavefront_offset 0
		.amdhsa_system_sgpr_workgroup_id_x 1
		.amdhsa_system_sgpr_workgroup_id_y 0
		.amdhsa_system_sgpr_workgroup_id_z 0
		.amdhsa_system_sgpr_workgroup_info 0
		.amdhsa_system_vgpr_workitem_id 0
		.amdhsa_next_free_vgpr 4
		.amdhsa_next_free_sgpr 7
		.amdhsa_reserve_vcc 1
		.amdhsa_reserve_flat_scratch 0
		.amdhsa_float_round_mode_32 0
		.amdhsa_float_round_mode_16_64 0
		.amdhsa_float_denorm_mode_32 3
		.amdhsa_float_denorm_mode_16_64 3
		.amdhsa_dx10_clamp 1
		.amdhsa_ieee_mode 1
		.amdhsa_fp16_overflow 0
		.amdhsa_exception_fp_ieee_invalid_op 0
		.amdhsa_exception_fp_denorm_src 0
		.amdhsa_exception_fp_ieee_div_zero 0
		.amdhsa_exception_fp_ieee_overflow 0
		.amdhsa_exception_fp_ieee_underflow 0
		.amdhsa_exception_fp_ieee_inexact 0
		.amdhsa_exception_int_div_zero 0
	.end_amdhsa_kernel
	.section	.text._ZL15unary_op_kernelIXadL_ZL11op_relu_sqrfEEfEvPKT0_PS0_i,"axG",@progbits,_ZL15unary_op_kernelIXadL_ZL11op_relu_sqrfEEfEvPKT0_PS0_i,comdat
.Lfunc_end74:
	.size	_ZL15unary_op_kernelIXadL_ZL11op_relu_sqrfEEfEvPKT0_PS0_i, .Lfunc_end74-_ZL15unary_op_kernelIXadL_ZL11op_relu_sqrfEEfEvPKT0_PS0_i
                                        ; -- End function
	.set _ZL15unary_op_kernelIXadL_ZL11op_relu_sqrfEEfEvPKT0_PS0_i.num_vgpr, 4
	.set _ZL15unary_op_kernelIXadL_ZL11op_relu_sqrfEEfEvPKT0_PS0_i.num_agpr, 0
	.set _ZL15unary_op_kernelIXadL_ZL11op_relu_sqrfEEfEvPKT0_PS0_i.numbered_sgpr, 7
	.set _ZL15unary_op_kernelIXadL_ZL11op_relu_sqrfEEfEvPKT0_PS0_i.num_named_barrier, 0
	.set _ZL15unary_op_kernelIXadL_ZL11op_relu_sqrfEEfEvPKT0_PS0_i.private_seg_size, 0
	.set _ZL15unary_op_kernelIXadL_ZL11op_relu_sqrfEEfEvPKT0_PS0_i.uses_vcc, 1
	.set _ZL15unary_op_kernelIXadL_ZL11op_relu_sqrfEEfEvPKT0_PS0_i.uses_flat_scratch, 0
	.set _ZL15unary_op_kernelIXadL_ZL11op_relu_sqrfEEfEvPKT0_PS0_i.has_dyn_sized_stack, 0
	.set _ZL15unary_op_kernelIXadL_ZL11op_relu_sqrfEEfEvPKT0_PS0_i.has_recursion, 0
	.set _ZL15unary_op_kernelIXadL_ZL11op_relu_sqrfEEfEvPKT0_PS0_i.has_indirect_call, 0
	.section	.AMDGPU.csdata,"",@progbits
; Kernel info:
; codeLenInByte = 132
; TotalNumSgprs: 11
; NumVgprs: 4
; ScratchSize: 0
; MemoryBound: 0
; FloatMode: 240
; IeeeMode: 1
; LDSByteSize: 0 bytes/workgroup (compile time only)
; SGPRBlocks: 1
; VGPRBlocks: 0
; NumSGPRsForWavesPerEU: 11
; NumVGPRsForWavesPerEU: 4
; Occupancy: 10
; WaveLimiterHint : 0
; COMPUTE_PGM_RSRC2:SCRATCH_EN: 0
; COMPUTE_PGM_RSRC2:USER_SGPR: 6
; COMPUTE_PGM_RSRC2:TRAP_HANDLER: 0
; COMPUTE_PGM_RSRC2:TGID_X_EN: 1
; COMPUTE_PGM_RSRC2:TGID_Y_EN: 0
; COMPUTE_PGM_RSRC2:TGID_Z_EN: 0
; COMPUTE_PGM_RSRC2:TIDIG_COMP_CNT: 0
	.section	.AMDGPU.gpr_maximums,"",@progbits
	.set amdgpu.max_num_vgpr, 0
	.set amdgpu.max_num_agpr, 0
	.set amdgpu.max_num_sgpr, 0
	.section	.AMDGPU.csdata,"",@progbits
	.type	__hip_cuid_51fd17ff329a7da4,@object ; @__hip_cuid_51fd17ff329a7da4
	.section	.bss,"aw",@nobits
	.globl	__hip_cuid_51fd17ff329a7da4
__hip_cuid_51fd17ff329a7da4:
	.byte	0                               ; 0x0
	.size	__hip_cuid_51fd17ff329a7da4, 1

	.ident	"AMD clang version 22.0.0git (https://github.com/RadeonOpenCompute/llvm-project roc-7.2.4 26084 f58b06dce1f9c15707c5f808fd002e18c2accf7e)"
	.section	".note.GNU-stack","",@progbits
	.addrsig
	.addrsig_sym __hip_cuid_51fd17ff329a7da4
	.amdgpu_metadata
---
amdhsa.kernels:
  - .args:
      - .address_space:  global
        .offset:         0
        .size:           8
        .value_kind:     global_buffer
      - .address_space:  global
        .offset:         8
        .size:           8
        .value_kind:     global_buffer
      - .offset:         16
        .size:           4
        .value_kind:     by_value
      - .offset:         24
        .size:           4
        .value_kind:     hidden_block_count_x
      - .offset:         28
        .size:           4
        .value_kind:     hidden_block_count_y
      - .offset:         32
        .size:           4
        .value_kind:     hidden_block_count_z
      - .offset:         36
        .size:           2
        .value_kind:     hidden_group_size_x
      - .offset:         38
        .size:           2
        .value_kind:     hidden_group_size_y
      - .offset:         40
        .size:           2
        .value_kind:     hidden_group_size_z
      - .offset:         42
        .size:           2
        .value_kind:     hidden_remainder_x
      - .offset:         44
        .size:           2
        .value_kind:     hidden_remainder_y
      - .offset:         46
        .size:           2
        .value_kind:     hidden_remainder_z
      - .offset:         64
        .size:           8
        .value_kind:     hidden_global_offset_x
      - .offset:         72
        .size:           8
        .value_kind:     hidden_global_offset_y
      - .offset:         80
        .size:           8
        .value_kind:     hidden_global_offset_z
      - .offset:         88
        .size:           2
        .value_kind:     hidden_grid_dims
    .group_segment_fixed_size: 0
    .kernarg_segment_align: 8
    .kernarg_segment_size: 280
    .language:       OpenCL C
    .language_version:
      - 2
      - 0
    .max_flat_workgroup_size: 1024
    .name:           _ZL15unary_op_kernelIXadL_ZL6op_absfEE6__halfEvPKT0_PS1_i
    .private_segment_fixed_size: 0
    .sgpr_count:     11
    .sgpr_spill_count: 0
    .symbol:         _ZL15unary_op_kernelIXadL_ZL6op_absfEE6__halfEvPKT0_PS1_i.kd
    .uniform_work_group_size: 1
    .uses_dynamic_stack: false
    .vgpr_count:     4
    .vgpr_spill_count: 0
    .wavefront_size: 64
  - .args:
      - .address_space:  global
        .offset:         0
        .size:           8
        .value_kind:     global_buffer
      - .address_space:  global
        .offset:         8
        .size:           8
        .value_kind:     global_buffer
      - .offset:         16
        .size:           4
        .value_kind:     by_value
      - .offset:         24
        .size:           4
        .value_kind:     hidden_block_count_x
      - .offset:         28
        .size:           4
        .value_kind:     hidden_block_count_y
      - .offset:         32
        .size:           4
        .value_kind:     hidden_block_count_z
      - .offset:         36
        .size:           2
        .value_kind:     hidden_group_size_x
      - .offset:         38
        .size:           2
        .value_kind:     hidden_group_size_y
      - .offset:         40
        .size:           2
        .value_kind:     hidden_group_size_z
      - .offset:         42
        .size:           2
        .value_kind:     hidden_remainder_x
      - .offset:         44
        .size:           2
        .value_kind:     hidden_remainder_y
      - .offset:         46
        .size:           2
        .value_kind:     hidden_remainder_z
      - .offset:         64
        .size:           8
        .value_kind:     hidden_global_offset_x
      - .offset:         72
        .size:           8
        .value_kind:     hidden_global_offset_y
      - .offset:         80
        .size:           8
        .value_kind:     hidden_global_offset_z
      - .offset:         88
        .size:           2
        .value_kind:     hidden_grid_dims
    .group_segment_fixed_size: 0
    .kernarg_segment_align: 8
    .kernarg_segment_size: 280
    .language:       OpenCL C
    .language_version:
      - 2
      - 0
    .max_flat_workgroup_size: 1024
    .name:           _ZL15unary_op_kernelIXadL_ZL6op_absfEEfEvPKT0_PS0_i
    .private_segment_fixed_size: 0
    .sgpr_count:     11
    .sgpr_spill_count: 0
    .symbol:         _ZL15unary_op_kernelIXadL_ZL6op_absfEEfEvPKT0_PS0_i.kd
    .uniform_work_group_size: 1
    .uses_dynamic_stack: false
    .vgpr_count:     4
    .vgpr_spill_count: 0
    .wavefront_size: 64
  - .args:
      - .address_space:  global
        .offset:         0
        .size:           8
        .value_kind:     global_buffer
      - .address_space:  global
        .offset:         8
        .size:           8
        .value_kind:     global_buffer
      - .offset:         16
        .size:           4
        .value_kind:     by_value
      - .offset:         24
        .size:           4
        .value_kind:     hidden_block_count_x
      - .offset:         28
        .size:           4
        .value_kind:     hidden_block_count_y
      - .offset:         32
        .size:           4
        .value_kind:     hidden_block_count_z
      - .offset:         36
        .size:           2
        .value_kind:     hidden_group_size_x
      - .offset:         38
        .size:           2
        .value_kind:     hidden_group_size_y
      - .offset:         40
        .size:           2
        .value_kind:     hidden_group_size_z
      - .offset:         42
        .size:           2
        .value_kind:     hidden_remainder_x
      - .offset:         44
        .size:           2
        .value_kind:     hidden_remainder_y
      - .offset:         46
        .size:           2
        .value_kind:     hidden_remainder_z
      - .offset:         64
        .size:           8
        .value_kind:     hidden_global_offset_x
      - .offset:         72
        .size:           8
        .value_kind:     hidden_global_offset_y
      - .offset:         80
        .size:           8
        .value_kind:     hidden_global_offset_z
      - .offset:         88
        .size:           2
        .value_kind:     hidden_grid_dims
    .group_segment_fixed_size: 0
    .kernarg_segment_align: 8
    .kernarg_segment_size: 280
    .language:       OpenCL C
    .language_version:
      - 2
      - 0
    .max_flat_workgroup_size: 1024
    .name:           _ZL15unary_op_kernelIXadL_ZL6op_sgnfEE6__halfEvPKT0_PS1_i
    .private_segment_fixed_size: 0
    .sgpr_count:     11
    .sgpr_spill_count: 0
    .symbol:         _ZL15unary_op_kernelIXadL_ZL6op_sgnfEE6__halfEvPKT0_PS1_i.kd
    .uniform_work_group_size: 1
    .uses_dynamic_stack: false
    .vgpr_count:     6
    .vgpr_spill_count: 0
    .wavefront_size: 64
  - .args:
      - .address_space:  global
        .offset:         0
        .size:           8
        .value_kind:     global_buffer
      - .address_space:  global
        .offset:         8
        .size:           8
        .value_kind:     global_buffer
      - .offset:         16
        .size:           4
        .value_kind:     by_value
      - .offset:         24
        .size:           4
        .value_kind:     hidden_block_count_x
      - .offset:         28
        .size:           4
        .value_kind:     hidden_block_count_y
      - .offset:         32
        .size:           4
        .value_kind:     hidden_block_count_z
      - .offset:         36
        .size:           2
        .value_kind:     hidden_group_size_x
      - .offset:         38
        .size:           2
        .value_kind:     hidden_group_size_y
      - .offset:         40
        .size:           2
        .value_kind:     hidden_group_size_z
      - .offset:         42
        .size:           2
        .value_kind:     hidden_remainder_x
      - .offset:         44
        .size:           2
        .value_kind:     hidden_remainder_y
      - .offset:         46
        .size:           2
        .value_kind:     hidden_remainder_z
      - .offset:         64
        .size:           8
        .value_kind:     hidden_global_offset_x
      - .offset:         72
        .size:           8
        .value_kind:     hidden_global_offset_y
      - .offset:         80
        .size:           8
        .value_kind:     hidden_global_offset_z
      - .offset:         88
        .size:           2
        .value_kind:     hidden_grid_dims
    .group_segment_fixed_size: 0
    .kernarg_segment_align: 8
    .kernarg_segment_size: 280
    .language:       OpenCL C
    .language_version:
      - 2
      - 0
    .max_flat_workgroup_size: 1024
    .name:           _ZL15unary_op_kernelIXadL_ZL6op_sgnfEEfEvPKT0_PS0_i
    .private_segment_fixed_size: 0
    .sgpr_count:     11
    .sgpr_spill_count: 0
    .symbol:         _ZL15unary_op_kernelIXadL_ZL6op_sgnfEEfEvPKT0_PS0_i.kd
    .uniform_work_group_size: 1
    .uses_dynamic_stack: false
    .vgpr_count:     5
    .vgpr_spill_count: 0
    .wavefront_size: 64
  - .args:
      - .address_space:  global
        .offset:         0
        .size:           8
        .value_kind:     global_buffer
      - .address_space:  global
        .offset:         8
        .size:           8
        .value_kind:     global_buffer
      - .offset:         16
        .size:           4
        .value_kind:     by_value
      - .offset:         24
        .size:           4
        .value_kind:     hidden_block_count_x
      - .offset:         28
        .size:           4
        .value_kind:     hidden_block_count_y
      - .offset:         32
        .size:           4
        .value_kind:     hidden_block_count_z
      - .offset:         36
        .size:           2
        .value_kind:     hidden_group_size_x
      - .offset:         38
        .size:           2
        .value_kind:     hidden_group_size_y
      - .offset:         40
        .size:           2
        .value_kind:     hidden_group_size_z
      - .offset:         42
        .size:           2
        .value_kind:     hidden_remainder_x
      - .offset:         44
        .size:           2
        .value_kind:     hidden_remainder_y
      - .offset:         46
        .size:           2
        .value_kind:     hidden_remainder_z
      - .offset:         64
        .size:           8
        .value_kind:     hidden_global_offset_x
      - .offset:         72
        .size:           8
        .value_kind:     hidden_global_offset_y
      - .offset:         80
        .size:           8
        .value_kind:     hidden_global_offset_z
      - .offset:         88
        .size:           2
        .value_kind:     hidden_grid_dims
    .group_segment_fixed_size: 0
    .kernarg_segment_align: 8
    .kernarg_segment_size: 280
    .language:       OpenCL C
    .language_version:
      - 2
      - 0
    .max_flat_workgroup_size: 1024
    .name:           _ZL15unary_op_kernelIXadL_ZL6op_negfEE6__halfEvPKT0_PS1_i
    .private_segment_fixed_size: 0
    .sgpr_count:     11
    .sgpr_spill_count: 0
    .symbol:         _ZL15unary_op_kernelIXadL_ZL6op_negfEE6__halfEvPKT0_PS1_i.kd
    .uniform_work_group_size: 1
    .uses_dynamic_stack: false
    .vgpr_count:     4
    .vgpr_spill_count: 0
    .wavefront_size: 64
  - .args:
      - .address_space:  global
        .offset:         0
        .size:           8
        .value_kind:     global_buffer
      - .address_space:  global
        .offset:         8
        .size:           8
        .value_kind:     global_buffer
      - .offset:         16
        .size:           4
        .value_kind:     by_value
      - .offset:         24
        .size:           4
        .value_kind:     hidden_block_count_x
      - .offset:         28
        .size:           4
        .value_kind:     hidden_block_count_y
      - .offset:         32
        .size:           4
        .value_kind:     hidden_block_count_z
      - .offset:         36
        .size:           2
        .value_kind:     hidden_group_size_x
      - .offset:         38
        .size:           2
        .value_kind:     hidden_group_size_y
      - .offset:         40
        .size:           2
        .value_kind:     hidden_group_size_z
      - .offset:         42
        .size:           2
        .value_kind:     hidden_remainder_x
      - .offset:         44
        .size:           2
        .value_kind:     hidden_remainder_y
      - .offset:         46
        .size:           2
        .value_kind:     hidden_remainder_z
      - .offset:         64
        .size:           8
        .value_kind:     hidden_global_offset_x
      - .offset:         72
        .size:           8
        .value_kind:     hidden_global_offset_y
      - .offset:         80
        .size:           8
        .value_kind:     hidden_global_offset_z
      - .offset:         88
        .size:           2
        .value_kind:     hidden_grid_dims
    .group_segment_fixed_size: 0
    .kernarg_segment_align: 8
    .kernarg_segment_size: 280
    .language:       OpenCL C
    .language_version:
      - 2
      - 0
    .max_flat_workgroup_size: 1024
    .name:           _ZL15unary_op_kernelIXadL_ZL6op_negfEEfEvPKT0_PS0_i
    .private_segment_fixed_size: 0
    .sgpr_count:     11
    .sgpr_spill_count: 0
    .symbol:         _ZL15unary_op_kernelIXadL_ZL6op_negfEEfEvPKT0_PS0_i.kd
    .uniform_work_group_size: 1
    .uses_dynamic_stack: false
    .vgpr_count:     4
    .vgpr_spill_count: 0
    .wavefront_size: 64
  - .args:
      - .address_space:  global
        .offset:         0
        .size:           8
        .value_kind:     global_buffer
      - .address_space:  global
        .offset:         8
        .size:           8
        .value_kind:     global_buffer
      - .offset:         16
        .size:           4
        .value_kind:     by_value
      - .offset:         24
        .size:           4
        .value_kind:     hidden_block_count_x
      - .offset:         28
        .size:           4
        .value_kind:     hidden_block_count_y
      - .offset:         32
        .size:           4
        .value_kind:     hidden_block_count_z
      - .offset:         36
        .size:           2
        .value_kind:     hidden_group_size_x
      - .offset:         38
        .size:           2
        .value_kind:     hidden_group_size_y
      - .offset:         40
        .size:           2
        .value_kind:     hidden_group_size_z
      - .offset:         42
        .size:           2
        .value_kind:     hidden_remainder_x
      - .offset:         44
        .size:           2
        .value_kind:     hidden_remainder_y
      - .offset:         46
        .size:           2
        .value_kind:     hidden_remainder_z
      - .offset:         64
        .size:           8
        .value_kind:     hidden_global_offset_x
      - .offset:         72
        .size:           8
        .value_kind:     hidden_global_offset_y
      - .offset:         80
        .size:           8
        .value_kind:     hidden_global_offset_z
      - .offset:         88
        .size:           2
        .value_kind:     hidden_grid_dims
    .group_segment_fixed_size: 0
    .kernarg_segment_align: 8
    .kernarg_segment_size: 280
    .language:       OpenCL C
    .language_version:
      - 2
      - 0
    .max_flat_workgroup_size: 1024
    .name:           _ZL15unary_op_kernelIXadL_ZL7op_stepfEE6__halfEvPKT0_PS1_i
    .private_segment_fixed_size: 0
    .sgpr_count:     11
    .sgpr_spill_count: 0
    .symbol:         _ZL15unary_op_kernelIXadL_ZL7op_stepfEE6__halfEvPKT0_PS1_i.kd
    .uniform_work_group_size: 1
    .uses_dynamic_stack: false
    .vgpr_count:     5
    .vgpr_spill_count: 0
    .wavefront_size: 64
  - .args:
      - .address_space:  global
        .offset:         0
        .size:           8
        .value_kind:     global_buffer
      - .address_space:  global
        .offset:         8
        .size:           8
        .value_kind:     global_buffer
      - .offset:         16
        .size:           4
        .value_kind:     by_value
      - .offset:         24
        .size:           4
        .value_kind:     hidden_block_count_x
      - .offset:         28
        .size:           4
        .value_kind:     hidden_block_count_y
      - .offset:         32
        .size:           4
        .value_kind:     hidden_block_count_z
      - .offset:         36
        .size:           2
        .value_kind:     hidden_group_size_x
      - .offset:         38
        .size:           2
        .value_kind:     hidden_group_size_y
      - .offset:         40
        .size:           2
        .value_kind:     hidden_group_size_z
      - .offset:         42
        .size:           2
        .value_kind:     hidden_remainder_x
      - .offset:         44
        .size:           2
        .value_kind:     hidden_remainder_y
      - .offset:         46
        .size:           2
        .value_kind:     hidden_remainder_z
      - .offset:         64
        .size:           8
        .value_kind:     hidden_global_offset_x
      - .offset:         72
        .size:           8
        .value_kind:     hidden_global_offset_y
      - .offset:         80
        .size:           8
        .value_kind:     hidden_global_offset_z
      - .offset:         88
        .size:           2
        .value_kind:     hidden_grid_dims
    .group_segment_fixed_size: 0
    .kernarg_segment_align: 8
    .kernarg_segment_size: 280
    .language:       OpenCL C
    .language_version:
      - 2
      - 0
    .max_flat_workgroup_size: 1024
    .name:           _ZL15unary_op_kernelIXadL_ZL7op_stepfEEfEvPKT0_PS0_i
    .private_segment_fixed_size: 0
    .sgpr_count:     11
    .sgpr_spill_count: 0
    .symbol:         _ZL15unary_op_kernelIXadL_ZL7op_stepfEEfEvPKT0_PS0_i.kd
    .uniform_work_group_size: 1
    .uses_dynamic_stack: false
    .vgpr_count:     4
    .vgpr_spill_count: 0
    .wavefront_size: 64
  - .args:
      - .address_space:  global
        .offset:         0
        .size:           8
        .value_kind:     global_buffer
      - .address_space:  global
        .offset:         8
        .size:           8
        .value_kind:     global_buffer
      - .offset:         16
        .size:           4
        .value_kind:     by_value
      - .offset:         24
        .size:           4
        .value_kind:     hidden_block_count_x
      - .offset:         28
        .size:           4
        .value_kind:     hidden_block_count_y
      - .offset:         32
        .size:           4
        .value_kind:     hidden_block_count_z
      - .offset:         36
        .size:           2
        .value_kind:     hidden_group_size_x
      - .offset:         38
        .size:           2
        .value_kind:     hidden_group_size_y
      - .offset:         40
        .size:           2
        .value_kind:     hidden_group_size_z
      - .offset:         42
        .size:           2
        .value_kind:     hidden_remainder_x
      - .offset:         44
        .size:           2
        .value_kind:     hidden_remainder_y
      - .offset:         46
        .size:           2
        .value_kind:     hidden_remainder_z
      - .offset:         64
        .size:           8
        .value_kind:     hidden_global_offset_x
      - .offset:         72
        .size:           8
        .value_kind:     hidden_global_offset_y
      - .offset:         80
        .size:           8
        .value_kind:     hidden_global_offset_z
      - .offset:         88
        .size:           2
        .value_kind:     hidden_grid_dims
    .group_segment_fixed_size: 0
    .kernarg_segment_align: 8
    .kernarg_segment_size: 280
    .language:       OpenCL C
    .language_version:
      - 2
      - 0
    .max_flat_workgroup_size: 1024
    .name:           _ZL15unary_op_kernelIXadL_ZL7op_gelufEE6__halfEvPKT0_PS1_i
    .private_segment_fixed_size: 0
    .sgpr_count:     11
    .sgpr_spill_count: 0
    .symbol:         _ZL15unary_op_kernelIXadL_ZL7op_gelufEE6__halfEvPKT0_PS1_i.kd
    .uniform_work_group_size: 1
    .uses_dynamic_stack: false
    .vgpr_count:     8
    .vgpr_spill_count: 0
    .wavefront_size: 64
  - .args:
      - .address_space:  global
        .offset:         0
        .size:           8
        .value_kind:     global_buffer
      - .address_space:  global
        .offset:         8
        .size:           8
        .value_kind:     global_buffer
      - .offset:         16
        .size:           4
        .value_kind:     by_value
      - .offset:         24
        .size:           4
        .value_kind:     hidden_block_count_x
      - .offset:         28
        .size:           4
        .value_kind:     hidden_block_count_y
      - .offset:         32
        .size:           4
        .value_kind:     hidden_block_count_z
      - .offset:         36
        .size:           2
        .value_kind:     hidden_group_size_x
      - .offset:         38
        .size:           2
        .value_kind:     hidden_group_size_y
      - .offset:         40
        .size:           2
        .value_kind:     hidden_group_size_z
      - .offset:         42
        .size:           2
        .value_kind:     hidden_remainder_x
      - .offset:         44
        .size:           2
        .value_kind:     hidden_remainder_y
      - .offset:         46
        .size:           2
        .value_kind:     hidden_remainder_z
      - .offset:         64
        .size:           8
        .value_kind:     hidden_global_offset_x
      - .offset:         72
        .size:           8
        .value_kind:     hidden_global_offset_y
      - .offset:         80
        .size:           8
        .value_kind:     hidden_global_offset_z
      - .offset:         88
        .size:           2
        .value_kind:     hidden_grid_dims
    .group_segment_fixed_size: 0
    .kernarg_segment_align: 8
    .kernarg_segment_size: 280
    .language:       OpenCL C
    .language_version:
      - 2
      - 0
    .max_flat_workgroup_size: 1024
    .name:           _ZL15unary_op_kernelIXadL_ZL7op_gelufEEfEvPKT0_PS0_i
    .private_segment_fixed_size: 0
    .sgpr_count:     11
    .sgpr_spill_count: 0
    .symbol:         _ZL15unary_op_kernelIXadL_ZL7op_gelufEEfEvPKT0_PS0_i.kd
    .uniform_work_group_size: 1
    .uses_dynamic_stack: false
    .vgpr_count:     8
    .vgpr_spill_count: 0
    .wavefront_size: 64
  - .args:
      - .address_space:  global
        .offset:         0
        .size:           8
        .value_kind:     global_buffer
      - .address_space:  global
        .offset:         8
        .size:           8
        .value_kind:     global_buffer
      - .offset:         16
        .size:           4
        .value_kind:     by_value
      - .offset:         24
        .size:           4
        .value_kind:     hidden_block_count_x
      - .offset:         28
        .size:           4
        .value_kind:     hidden_block_count_y
      - .offset:         32
        .size:           4
        .value_kind:     hidden_block_count_z
      - .offset:         36
        .size:           2
        .value_kind:     hidden_group_size_x
      - .offset:         38
        .size:           2
        .value_kind:     hidden_group_size_y
      - .offset:         40
        .size:           2
        .value_kind:     hidden_group_size_z
      - .offset:         42
        .size:           2
        .value_kind:     hidden_remainder_x
      - .offset:         44
        .size:           2
        .value_kind:     hidden_remainder_y
      - .offset:         46
        .size:           2
        .value_kind:     hidden_remainder_z
      - .offset:         64
        .size:           8
        .value_kind:     hidden_global_offset_x
      - .offset:         72
        .size:           8
        .value_kind:     hidden_global_offset_y
      - .offset:         80
        .size:           8
        .value_kind:     hidden_global_offset_z
      - .offset:         88
        .size:           2
        .value_kind:     hidden_grid_dims
    .group_segment_fixed_size: 0
    .kernarg_segment_align: 8
    .kernarg_segment_size: 280
    .language:       OpenCL C
    .language_version:
      - 2
      - 0
    .max_flat_workgroup_size: 1024
    .name:           _ZL15unary_op_kernelIXadL_ZL11op_gelu_erffEE6__halfEvPKT0_PS1_i
    .private_segment_fixed_size: 0
    .sgpr_count:     11
    .sgpr_spill_count: 0
    .symbol:         _ZL15unary_op_kernelIXadL_ZL11op_gelu_erffEE6__halfEvPKT0_PS1_i.kd
    .uniform_work_group_size: 1
    .uses_dynamic_stack: false
    .vgpr_count:     8
    .vgpr_spill_count: 0
    .wavefront_size: 64
  - .args:
      - .address_space:  global
        .offset:         0
        .size:           8
        .value_kind:     global_buffer
      - .address_space:  global
        .offset:         8
        .size:           8
        .value_kind:     global_buffer
      - .offset:         16
        .size:           4
        .value_kind:     by_value
      - .offset:         24
        .size:           4
        .value_kind:     hidden_block_count_x
      - .offset:         28
        .size:           4
        .value_kind:     hidden_block_count_y
      - .offset:         32
        .size:           4
        .value_kind:     hidden_block_count_z
      - .offset:         36
        .size:           2
        .value_kind:     hidden_group_size_x
      - .offset:         38
        .size:           2
        .value_kind:     hidden_group_size_y
      - .offset:         40
        .size:           2
        .value_kind:     hidden_group_size_z
      - .offset:         42
        .size:           2
        .value_kind:     hidden_remainder_x
      - .offset:         44
        .size:           2
        .value_kind:     hidden_remainder_y
      - .offset:         46
        .size:           2
        .value_kind:     hidden_remainder_z
      - .offset:         64
        .size:           8
        .value_kind:     hidden_global_offset_x
      - .offset:         72
        .size:           8
        .value_kind:     hidden_global_offset_y
      - .offset:         80
        .size:           8
        .value_kind:     hidden_global_offset_z
      - .offset:         88
        .size:           2
        .value_kind:     hidden_grid_dims
    .group_segment_fixed_size: 0
    .kernarg_segment_align: 8
    .kernarg_segment_size: 280
    .language:       OpenCL C
    .language_version:
      - 2
      - 0
    .max_flat_workgroup_size: 1024
    .name:           _ZL15unary_op_kernelIXadL_ZL11op_gelu_erffEEfEvPKT0_PS0_i
    .private_segment_fixed_size: 0
    .sgpr_count:     11
    .sgpr_spill_count: 0
    .symbol:         _ZL15unary_op_kernelIXadL_ZL11op_gelu_erffEEfEvPKT0_PS0_i.kd
    .uniform_work_group_size: 1
    .uses_dynamic_stack: false
    .vgpr_count:     8
    .vgpr_spill_count: 0
    .wavefront_size: 64
  - .args:
      - .address_space:  global
        .offset:         0
        .size:           8
        .value_kind:     global_buffer
      - .address_space:  global
        .offset:         8
        .size:           8
        .value_kind:     global_buffer
      - .offset:         16
        .size:           4
        .value_kind:     by_value
      - .offset:         24
        .size:           4
        .value_kind:     hidden_block_count_x
      - .offset:         28
        .size:           4
        .value_kind:     hidden_block_count_y
      - .offset:         32
        .size:           4
        .value_kind:     hidden_block_count_z
      - .offset:         36
        .size:           2
        .value_kind:     hidden_group_size_x
      - .offset:         38
        .size:           2
        .value_kind:     hidden_group_size_y
      - .offset:         40
        .size:           2
        .value_kind:     hidden_group_size_z
      - .offset:         42
        .size:           2
        .value_kind:     hidden_remainder_x
      - .offset:         44
        .size:           2
        .value_kind:     hidden_remainder_y
      - .offset:         46
        .size:           2
        .value_kind:     hidden_remainder_z
      - .offset:         64
        .size:           8
        .value_kind:     hidden_global_offset_x
      - .offset:         72
        .size:           8
        .value_kind:     hidden_global_offset_y
      - .offset:         80
        .size:           8
        .value_kind:     hidden_global_offset_z
      - .offset:         88
        .size:           2
        .value_kind:     hidden_grid_dims
    .group_segment_fixed_size: 0
    .kernarg_segment_align: 8
    .kernarg_segment_size: 280
    .language:       OpenCL C
    .language_version:
      - 2
      - 0
    .max_flat_workgroup_size: 1024
    .name:           _ZL15unary_op_kernelIXadL_ZL13op_gelu_quickfEE6__halfEvPKT0_PS1_i
    .private_segment_fixed_size: 0
    .sgpr_count:     11
    .sgpr_spill_count: 0
    .symbol:         _ZL15unary_op_kernelIXadL_ZL13op_gelu_quickfEE6__halfEvPKT0_PS1_i.kd
    .uniform_work_group_size: 1
    .uses_dynamic_stack: false
    .vgpr_count:     9
    .vgpr_spill_count: 0
    .wavefront_size: 64
  - .args:
      - .address_space:  global
        .offset:         0
        .size:           8
        .value_kind:     global_buffer
      - .address_space:  global
        .offset:         8
        .size:           8
        .value_kind:     global_buffer
      - .offset:         16
        .size:           4
        .value_kind:     by_value
      - .offset:         24
        .size:           4
        .value_kind:     hidden_block_count_x
      - .offset:         28
        .size:           4
        .value_kind:     hidden_block_count_y
      - .offset:         32
        .size:           4
        .value_kind:     hidden_block_count_z
      - .offset:         36
        .size:           2
        .value_kind:     hidden_group_size_x
      - .offset:         38
        .size:           2
        .value_kind:     hidden_group_size_y
      - .offset:         40
        .size:           2
        .value_kind:     hidden_group_size_z
      - .offset:         42
        .size:           2
        .value_kind:     hidden_remainder_x
      - .offset:         44
        .size:           2
        .value_kind:     hidden_remainder_y
      - .offset:         46
        .size:           2
        .value_kind:     hidden_remainder_z
      - .offset:         64
        .size:           8
        .value_kind:     hidden_global_offset_x
      - .offset:         72
        .size:           8
        .value_kind:     hidden_global_offset_y
      - .offset:         80
        .size:           8
        .value_kind:     hidden_global_offset_z
      - .offset:         88
        .size:           2
        .value_kind:     hidden_grid_dims
    .group_segment_fixed_size: 0
    .kernarg_segment_align: 8
    .kernarg_segment_size: 280
    .language:       OpenCL C
    .language_version:
      - 2
      - 0
    .max_flat_workgroup_size: 1024
    .name:           _ZL15unary_op_kernelIXadL_ZL13op_gelu_quickfEEfEvPKT0_PS0_i
    .private_segment_fixed_size: 0
    .sgpr_count:     11
    .sgpr_spill_count: 0
    .symbol:         _ZL15unary_op_kernelIXadL_ZL13op_gelu_quickfEEfEvPKT0_PS0_i.kd
    .uniform_work_group_size: 1
    .uses_dynamic_stack: false
    .vgpr_count:     9
    .vgpr_spill_count: 0
    .wavefront_size: 64
  - .args:
      - .address_space:  global
        .offset:         0
        .size:           8
        .value_kind:     global_buffer
      - .address_space:  global
        .offset:         8
        .size:           8
        .value_kind:     global_buffer
      - .offset:         16
        .size:           4
        .value_kind:     by_value
      - .offset:         24
        .size:           4
        .value_kind:     hidden_block_count_x
      - .offset:         28
        .size:           4
        .value_kind:     hidden_block_count_y
      - .offset:         32
        .size:           4
        .value_kind:     hidden_block_count_z
      - .offset:         36
        .size:           2
        .value_kind:     hidden_group_size_x
      - .offset:         38
        .size:           2
        .value_kind:     hidden_group_size_y
      - .offset:         40
        .size:           2
        .value_kind:     hidden_group_size_z
      - .offset:         42
        .size:           2
        .value_kind:     hidden_remainder_x
      - .offset:         44
        .size:           2
        .value_kind:     hidden_remainder_y
      - .offset:         46
        .size:           2
        .value_kind:     hidden_remainder_z
      - .offset:         64
        .size:           8
        .value_kind:     hidden_global_offset_x
      - .offset:         72
        .size:           8
        .value_kind:     hidden_global_offset_y
      - .offset:         80
        .size:           8
        .value_kind:     hidden_global_offset_z
      - .offset:         88
        .size:           2
        .value_kind:     hidden_grid_dims
    .group_segment_fixed_size: 0
    .kernarg_segment_align: 8
    .kernarg_segment_size: 280
    .language:       OpenCL C
    .language_version:
      - 2
      - 0
    .max_flat_workgroup_size: 1024
    .name:           _ZL15unary_op_kernelIXadL_ZL7op_silufEE6__halfEvPKT0_PS1_i
    .private_segment_fixed_size: 0
    .sgpr_count:     11
    .sgpr_spill_count: 0
    .symbol:         _ZL15unary_op_kernelIXadL_ZL7op_silufEE6__halfEvPKT0_PS1_i.kd
    .uniform_work_group_size: 1
    .uses_dynamic_stack: false
    .vgpr_count:     9
    .vgpr_spill_count: 0
    .wavefront_size: 64
  - .args:
      - .address_space:  global
        .offset:         0
        .size:           8
        .value_kind:     global_buffer
      - .address_space:  global
        .offset:         8
        .size:           8
        .value_kind:     global_buffer
      - .offset:         16
        .size:           4
        .value_kind:     by_value
      - .offset:         24
        .size:           4
        .value_kind:     hidden_block_count_x
      - .offset:         28
        .size:           4
        .value_kind:     hidden_block_count_y
      - .offset:         32
        .size:           4
        .value_kind:     hidden_block_count_z
      - .offset:         36
        .size:           2
        .value_kind:     hidden_group_size_x
      - .offset:         38
        .size:           2
        .value_kind:     hidden_group_size_y
      - .offset:         40
        .size:           2
        .value_kind:     hidden_group_size_z
      - .offset:         42
        .size:           2
        .value_kind:     hidden_remainder_x
      - .offset:         44
        .size:           2
        .value_kind:     hidden_remainder_y
      - .offset:         46
        .size:           2
        .value_kind:     hidden_remainder_z
      - .offset:         64
        .size:           8
        .value_kind:     hidden_global_offset_x
      - .offset:         72
        .size:           8
        .value_kind:     hidden_global_offset_y
      - .offset:         80
        .size:           8
        .value_kind:     hidden_global_offset_z
      - .offset:         88
        .size:           2
        .value_kind:     hidden_grid_dims
    .group_segment_fixed_size: 0
    .kernarg_segment_align: 8
    .kernarg_segment_size: 280
    .language:       OpenCL C
    .language_version:
      - 2
      - 0
    .max_flat_workgroup_size: 1024
    .name:           _ZL15unary_op_kernelIXadL_ZL7op_silufEEfEvPKT0_PS0_i
    .private_segment_fixed_size: 0
    .sgpr_count:     11
    .sgpr_spill_count: 0
    .symbol:         _ZL15unary_op_kernelIXadL_ZL7op_silufEEfEvPKT0_PS0_i.kd
    .uniform_work_group_size: 1
    .uses_dynamic_stack: false
    .vgpr_count:     9
    .vgpr_spill_count: 0
    .wavefront_size: 64
  - .args:
      - .address_space:  global
        .offset:         0
        .size:           8
        .value_kind:     global_buffer
      - .address_space:  global
        .offset:         8
        .size:           8
        .value_kind:     global_buffer
      - .offset:         16
        .size:           4
        .value_kind:     by_value
      - .offset:         24
        .size:           4
        .value_kind:     hidden_block_count_x
      - .offset:         28
        .size:           4
        .value_kind:     hidden_block_count_y
      - .offset:         32
        .size:           4
        .value_kind:     hidden_block_count_z
      - .offset:         36
        .size:           2
        .value_kind:     hidden_group_size_x
      - .offset:         38
        .size:           2
        .value_kind:     hidden_group_size_y
      - .offset:         40
        .size:           2
        .value_kind:     hidden_group_size_z
      - .offset:         42
        .size:           2
        .value_kind:     hidden_remainder_x
      - .offset:         44
        .size:           2
        .value_kind:     hidden_remainder_y
      - .offset:         46
        .size:           2
        .value_kind:     hidden_remainder_z
      - .offset:         64
        .size:           8
        .value_kind:     hidden_global_offset_x
      - .offset:         72
        .size:           8
        .value_kind:     hidden_global_offset_y
      - .offset:         80
        .size:           8
        .value_kind:     hidden_global_offset_z
      - .offset:         88
        .size:           2
        .value_kind:     hidden_grid_dims
    .group_segment_fixed_size: 0
    .kernarg_segment_align: 8
    .kernarg_segment_size: 280
    .language:       OpenCL C
    .language_version:
      - 2
      - 0
    .max_flat_workgroup_size: 1024
    .name:           _ZL15unary_op_kernelIXadL_ZL7op_tanhfEE6__halfEvPKT0_PS1_i
    .private_segment_fixed_size: 0
    .sgpr_count:     11
    .sgpr_spill_count: 0
    .symbol:         _ZL15unary_op_kernelIXadL_ZL7op_tanhfEE6__halfEvPKT0_PS1_i.kd
    .uniform_work_group_size: 1
    .uses_dynamic_stack: false
    .vgpr_count:     7
    .vgpr_spill_count: 0
    .wavefront_size: 64
  - .args:
      - .address_space:  global
        .offset:         0
        .size:           8
        .value_kind:     global_buffer
      - .address_space:  global
        .offset:         8
        .size:           8
        .value_kind:     global_buffer
      - .offset:         16
        .size:           4
        .value_kind:     by_value
      - .offset:         24
        .size:           4
        .value_kind:     hidden_block_count_x
      - .offset:         28
        .size:           4
        .value_kind:     hidden_block_count_y
      - .offset:         32
        .size:           4
        .value_kind:     hidden_block_count_z
      - .offset:         36
        .size:           2
        .value_kind:     hidden_group_size_x
      - .offset:         38
        .size:           2
        .value_kind:     hidden_group_size_y
      - .offset:         40
        .size:           2
        .value_kind:     hidden_group_size_z
      - .offset:         42
        .size:           2
        .value_kind:     hidden_remainder_x
      - .offset:         44
        .size:           2
        .value_kind:     hidden_remainder_y
      - .offset:         46
        .size:           2
        .value_kind:     hidden_remainder_z
      - .offset:         64
        .size:           8
        .value_kind:     hidden_global_offset_x
      - .offset:         72
        .size:           8
        .value_kind:     hidden_global_offset_y
      - .offset:         80
        .size:           8
        .value_kind:     hidden_global_offset_z
      - .offset:         88
        .size:           2
        .value_kind:     hidden_grid_dims
    .group_segment_fixed_size: 0
    .kernarg_segment_align: 8
    .kernarg_segment_size: 280
    .language:       OpenCL C
    .language_version:
      - 2
      - 0
    .max_flat_workgroup_size: 1024
    .name:           _ZL15unary_op_kernelIXadL_ZL7op_tanhfEEfEvPKT0_PS0_i
    .private_segment_fixed_size: 0
    .sgpr_count:     11
    .sgpr_spill_count: 0
    .symbol:         _ZL15unary_op_kernelIXadL_ZL7op_tanhfEEfEvPKT0_PS0_i.kd
    .uniform_work_group_size: 1
    .uses_dynamic_stack: false
    .vgpr_count:     7
    .vgpr_spill_count: 0
    .wavefront_size: 64
  - .args:
      - .address_space:  global
        .offset:         0
        .size:           8
        .value_kind:     global_buffer
      - .address_space:  global
        .offset:         8
        .size:           8
        .value_kind:     global_buffer
      - .offset:         16
        .size:           4
        .value_kind:     by_value
      - .offset:         24
        .size:           4
        .value_kind:     hidden_block_count_x
      - .offset:         28
        .size:           4
        .value_kind:     hidden_block_count_y
      - .offset:         32
        .size:           4
        .value_kind:     hidden_block_count_z
      - .offset:         36
        .size:           2
        .value_kind:     hidden_group_size_x
      - .offset:         38
        .size:           2
        .value_kind:     hidden_group_size_y
      - .offset:         40
        .size:           2
        .value_kind:     hidden_group_size_z
      - .offset:         42
        .size:           2
        .value_kind:     hidden_remainder_x
      - .offset:         44
        .size:           2
        .value_kind:     hidden_remainder_y
      - .offset:         46
        .size:           2
        .value_kind:     hidden_remainder_z
      - .offset:         64
        .size:           8
        .value_kind:     hidden_global_offset_x
      - .offset:         72
        .size:           8
        .value_kind:     hidden_global_offset_y
      - .offset:         80
        .size:           8
        .value_kind:     hidden_global_offset_z
      - .offset:         88
        .size:           2
        .value_kind:     hidden_grid_dims
    .group_segment_fixed_size: 0
    .kernarg_segment_align: 8
    .kernarg_segment_size: 280
    .language:       OpenCL C
    .language_version:
      - 2
      - 0
    .max_flat_workgroup_size: 1024
    .name:           _ZL15unary_op_kernelIXadL_ZL7op_relufEE6__halfEvPKT0_PS1_i
    .private_segment_fixed_size: 0
    .sgpr_count:     11
    .sgpr_spill_count: 0
    .symbol:         _ZL15unary_op_kernelIXadL_ZL7op_relufEE6__halfEvPKT0_PS1_i.kd
    .uniform_work_group_size: 1
    .uses_dynamic_stack: false
    .vgpr_count:     4
    .vgpr_spill_count: 0
    .wavefront_size: 64
  - .args:
      - .address_space:  global
        .offset:         0
        .size:           8
        .value_kind:     global_buffer
      - .address_space:  global
        .offset:         8
        .size:           8
        .value_kind:     global_buffer
      - .offset:         16
        .size:           4
        .value_kind:     by_value
      - .offset:         24
        .size:           4
        .value_kind:     hidden_block_count_x
      - .offset:         28
        .size:           4
        .value_kind:     hidden_block_count_y
      - .offset:         32
        .size:           4
        .value_kind:     hidden_block_count_z
      - .offset:         36
        .size:           2
        .value_kind:     hidden_group_size_x
      - .offset:         38
        .size:           2
        .value_kind:     hidden_group_size_y
      - .offset:         40
        .size:           2
        .value_kind:     hidden_group_size_z
      - .offset:         42
        .size:           2
        .value_kind:     hidden_remainder_x
      - .offset:         44
        .size:           2
        .value_kind:     hidden_remainder_y
      - .offset:         46
        .size:           2
        .value_kind:     hidden_remainder_z
      - .offset:         64
        .size:           8
        .value_kind:     hidden_global_offset_x
      - .offset:         72
        .size:           8
        .value_kind:     hidden_global_offset_y
      - .offset:         80
        .size:           8
        .value_kind:     hidden_global_offset_z
      - .offset:         88
        .size:           2
        .value_kind:     hidden_grid_dims
    .group_segment_fixed_size: 0
    .kernarg_segment_align: 8
    .kernarg_segment_size: 280
    .language:       OpenCL C
    .language_version:
      - 2
      - 0
    .max_flat_workgroup_size: 1024
    .name:           _ZL15unary_op_kernelIXadL_ZL7op_relufEEfEvPKT0_PS0_i
    .private_segment_fixed_size: 0
    .sgpr_count:     11
    .sgpr_spill_count: 0
    .symbol:         _ZL15unary_op_kernelIXadL_ZL7op_relufEEfEvPKT0_PS0_i.kd
    .uniform_work_group_size: 1
    .uses_dynamic_stack: false
    .vgpr_count:     4
    .vgpr_spill_count: 0
    .wavefront_size: 64
  - .args:
      - .address_space:  global
        .offset:         0
        .size:           8
        .value_kind:     global_buffer
      - .address_space:  global
        .offset:         8
        .size:           8
        .value_kind:     global_buffer
      - .offset:         16
        .size:           4
        .value_kind:     by_value
      - .offset:         24
        .size:           4
        .value_kind:     hidden_block_count_x
      - .offset:         28
        .size:           4
        .value_kind:     hidden_block_count_y
      - .offset:         32
        .size:           4
        .value_kind:     hidden_block_count_z
      - .offset:         36
        .size:           2
        .value_kind:     hidden_group_size_x
      - .offset:         38
        .size:           2
        .value_kind:     hidden_group_size_y
      - .offset:         40
        .size:           2
        .value_kind:     hidden_group_size_z
      - .offset:         42
        .size:           2
        .value_kind:     hidden_remainder_x
      - .offset:         44
        .size:           2
        .value_kind:     hidden_remainder_y
      - .offset:         46
        .size:           2
        .value_kind:     hidden_remainder_z
      - .offset:         64
        .size:           8
        .value_kind:     hidden_global_offset_x
      - .offset:         72
        .size:           8
        .value_kind:     hidden_global_offset_y
      - .offset:         80
        .size:           8
        .value_kind:     hidden_global_offset_z
      - .offset:         88
        .size:           2
        .value_kind:     hidden_grid_dims
    .group_segment_fixed_size: 0
    .kernarg_segment_align: 8
    .kernarg_segment_size: 280
    .language:       OpenCL C
    .language_version:
      - 2
      - 0
    .max_flat_workgroup_size: 1024
    .name:           _ZL15unary_op_kernelIXadL_ZL10op_sigmoidfEE6__halfEvPKT0_PS1_i
    .private_segment_fixed_size: 0
    .sgpr_count:     11
    .sgpr_spill_count: 0
    .symbol:         _ZL15unary_op_kernelIXadL_ZL10op_sigmoidfEE6__halfEvPKT0_PS1_i.kd
    .uniform_work_group_size: 1
    .uses_dynamic_stack: false
    .vgpr_count:     8
    .vgpr_spill_count: 0
    .wavefront_size: 64
  - .args:
      - .address_space:  global
        .offset:         0
        .size:           8
        .value_kind:     global_buffer
      - .address_space:  global
        .offset:         8
        .size:           8
        .value_kind:     global_buffer
      - .offset:         16
        .size:           4
        .value_kind:     by_value
      - .offset:         24
        .size:           4
        .value_kind:     hidden_block_count_x
      - .offset:         28
        .size:           4
        .value_kind:     hidden_block_count_y
      - .offset:         32
        .size:           4
        .value_kind:     hidden_block_count_z
      - .offset:         36
        .size:           2
        .value_kind:     hidden_group_size_x
      - .offset:         38
        .size:           2
        .value_kind:     hidden_group_size_y
      - .offset:         40
        .size:           2
        .value_kind:     hidden_group_size_z
      - .offset:         42
        .size:           2
        .value_kind:     hidden_remainder_x
      - .offset:         44
        .size:           2
        .value_kind:     hidden_remainder_y
      - .offset:         46
        .size:           2
        .value_kind:     hidden_remainder_z
      - .offset:         64
        .size:           8
        .value_kind:     hidden_global_offset_x
      - .offset:         72
        .size:           8
        .value_kind:     hidden_global_offset_y
      - .offset:         80
        .size:           8
        .value_kind:     hidden_global_offset_z
      - .offset:         88
        .size:           2
        .value_kind:     hidden_grid_dims
    .group_segment_fixed_size: 0
    .kernarg_segment_align: 8
    .kernarg_segment_size: 280
    .language:       OpenCL C
    .language_version:
      - 2
      - 0
    .max_flat_workgroup_size: 1024
    .name:           _ZL15unary_op_kernelIXadL_ZL10op_sigmoidfEEfEvPKT0_PS0_i
    .private_segment_fixed_size: 0
    .sgpr_count:     11
    .sgpr_spill_count: 0
    .symbol:         _ZL15unary_op_kernelIXadL_ZL10op_sigmoidfEEfEvPKT0_PS0_i.kd
    .uniform_work_group_size: 1
    .uses_dynamic_stack: false
    .vgpr_count:     8
    .vgpr_spill_count: 0
    .wavefront_size: 64
  - .args:
      - .address_space:  global
        .offset:         0
        .size:           8
        .value_kind:     global_buffer
      - .address_space:  global
        .offset:         8
        .size:           8
        .value_kind:     global_buffer
      - .offset:         16
        .size:           4
        .value_kind:     by_value
      - .offset:         24
        .size:           4
        .value_kind:     hidden_block_count_x
      - .offset:         28
        .size:           4
        .value_kind:     hidden_block_count_y
      - .offset:         32
        .size:           4
        .value_kind:     hidden_block_count_z
      - .offset:         36
        .size:           2
        .value_kind:     hidden_group_size_x
      - .offset:         38
        .size:           2
        .value_kind:     hidden_group_size_y
      - .offset:         40
        .size:           2
        .value_kind:     hidden_group_size_z
      - .offset:         42
        .size:           2
        .value_kind:     hidden_remainder_x
      - .offset:         44
        .size:           2
        .value_kind:     hidden_remainder_y
      - .offset:         46
        .size:           2
        .value_kind:     hidden_remainder_z
      - .offset:         64
        .size:           8
        .value_kind:     hidden_global_offset_x
      - .offset:         72
        .size:           8
        .value_kind:     hidden_global_offset_y
      - .offset:         80
        .size:           8
        .value_kind:     hidden_global_offset_z
      - .offset:         88
        .size:           2
        .value_kind:     hidden_grid_dims
    .group_segment_fixed_size: 0
    .kernarg_segment_align: 8
    .kernarg_segment_size: 280
    .language:       OpenCL C
    .language_version:
      - 2
      - 0
    .max_flat_workgroup_size: 1024
    .name:           _ZL15unary_op_kernelIXadL_ZL14op_hardsigmoidfEE6__halfEvPKT0_PS1_i
    .private_segment_fixed_size: 0
    .sgpr_count:     11
    .sgpr_spill_count: 0
    .symbol:         _ZL15unary_op_kernelIXadL_ZL14op_hardsigmoidfEE6__halfEvPKT0_PS1_i.kd
    .uniform_work_group_size: 1
    .uses_dynamic_stack: false
    .vgpr_count:     8
    .vgpr_spill_count: 0
    .wavefront_size: 64
  - .args:
      - .address_space:  global
        .offset:         0
        .size:           8
        .value_kind:     global_buffer
      - .address_space:  global
        .offset:         8
        .size:           8
        .value_kind:     global_buffer
      - .offset:         16
        .size:           4
        .value_kind:     by_value
      - .offset:         24
        .size:           4
        .value_kind:     hidden_block_count_x
      - .offset:         28
        .size:           4
        .value_kind:     hidden_block_count_y
      - .offset:         32
        .size:           4
        .value_kind:     hidden_block_count_z
      - .offset:         36
        .size:           2
        .value_kind:     hidden_group_size_x
      - .offset:         38
        .size:           2
        .value_kind:     hidden_group_size_y
      - .offset:         40
        .size:           2
        .value_kind:     hidden_group_size_z
      - .offset:         42
        .size:           2
        .value_kind:     hidden_remainder_x
      - .offset:         44
        .size:           2
        .value_kind:     hidden_remainder_y
      - .offset:         46
        .size:           2
        .value_kind:     hidden_remainder_z
      - .offset:         64
        .size:           8
        .value_kind:     hidden_global_offset_x
      - .offset:         72
        .size:           8
        .value_kind:     hidden_global_offset_y
      - .offset:         80
        .size:           8
        .value_kind:     hidden_global_offset_z
      - .offset:         88
        .size:           2
        .value_kind:     hidden_grid_dims
    .group_segment_fixed_size: 0
    .kernarg_segment_align: 8
    .kernarg_segment_size: 280
    .language:       OpenCL C
    .language_version:
      - 2
      - 0
    .max_flat_workgroup_size: 1024
    .name:           _ZL15unary_op_kernelIXadL_ZL14op_hardsigmoidfEEfEvPKT0_PS0_i
    .private_segment_fixed_size: 0
    .sgpr_count:     11
    .sgpr_spill_count: 0
    .symbol:         _ZL15unary_op_kernelIXadL_ZL14op_hardsigmoidfEEfEvPKT0_PS0_i.kd
    .uniform_work_group_size: 1
    .uses_dynamic_stack: false
    .vgpr_count:     8
    .vgpr_spill_count: 0
    .wavefront_size: 64
  - .args:
      - .address_space:  global
        .offset:         0
        .size:           8
        .value_kind:     global_buffer
      - .address_space:  global
        .offset:         8
        .size:           8
        .value_kind:     global_buffer
      - .offset:         16
        .size:           4
        .value_kind:     by_value
      - .offset:         24
        .size:           4
        .value_kind:     hidden_block_count_x
      - .offset:         28
        .size:           4
        .value_kind:     hidden_block_count_y
      - .offset:         32
        .size:           4
        .value_kind:     hidden_block_count_z
      - .offset:         36
        .size:           2
        .value_kind:     hidden_group_size_x
      - .offset:         38
        .size:           2
        .value_kind:     hidden_group_size_y
      - .offset:         40
        .size:           2
        .value_kind:     hidden_group_size_z
      - .offset:         42
        .size:           2
        .value_kind:     hidden_remainder_x
      - .offset:         44
        .size:           2
        .value_kind:     hidden_remainder_y
      - .offset:         46
        .size:           2
        .value_kind:     hidden_remainder_z
      - .offset:         64
        .size:           8
        .value_kind:     hidden_global_offset_x
      - .offset:         72
        .size:           8
        .value_kind:     hidden_global_offset_y
      - .offset:         80
        .size:           8
        .value_kind:     hidden_global_offset_z
      - .offset:         88
        .size:           2
        .value_kind:     hidden_grid_dims
    .group_segment_fixed_size: 0
    .kernarg_segment_align: 8
    .kernarg_segment_size: 280
    .language:       OpenCL C
    .language_version:
      - 2
      - 0
    .max_flat_workgroup_size: 1024
    .name:           _ZL15unary_op_kernelIXadL_ZL12op_hardswishfEE6__halfEvPKT0_PS1_i
    .private_segment_fixed_size: 0
    .sgpr_count:     11
    .sgpr_spill_count: 0
    .symbol:         _ZL15unary_op_kernelIXadL_ZL12op_hardswishfEE6__halfEvPKT0_PS1_i.kd
    .uniform_work_group_size: 1
    .uses_dynamic_stack: false
    .vgpr_count:     9
    .vgpr_spill_count: 0
    .wavefront_size: 64
  - .args:
      - .address_space:  global
        .offset:         0
        .size:           8
        .value_kind:     global_buffer
      - .address_space:  global
        .offset:         8
        .size:           8
        .value_kind:     global_buffer
      - .offset:         16
        .size:           4
        .value_kind:     by_value
      - .offset:         24
        .size:           4
        .value_kind:     hidden_block_count_x
      - .offset:         28
        .size:           4
        .value_kind:     hidden_block_count_y
      - .offset:         32
        .size:           4
        .value_kind:     hidden_block_count_z
      - .offset:         36
        .size:           2
        .value_kind:     hidden_group_size_x
      - .offset:         38
        .size:           2
        .value_kind:     hidden_group_size_y
      - .offset:         40
        .size:           2
        .value_kind:     hidden_group_size_z
      - .offset:         42
        .size:           2
        .value_kind:     hidden_remainder_x
      - .offset:         44
        .size:           2
        .value_kind:     hidden_remainder_y
      - .offset:         46
        .size:           2
        .value_kind:     hidden_remainder_z
      - .offset:         64
        .size:           8
        .value_kind:     hidden_global_offset_x
      - .offset:         72
        .size:           8
        .value_kind:     hidden_global_offset_y
      - .offset:         80
        .size:           8
        .value_kind:     hidden_global_offset_z
      - .offset:         88
        .size:           2
        .value_kind:     hidden_grid_dims
    .group_segment_fixed_size: 0
    .kernarg_segment_align: 8
    .kernarg_segment_size: 280
    .language:       OpenCL C
    .language_version:
      - 2
      - 0
    .max_flat_workgroup_size: 1024
    .name:           _ZL15unary_op_kernelIXadL_ZL12op_hardswishfEEfEvPKT0_PS0_i
    .private_segment_fixed_size: 0
    .sgpr_count:     11
    .sgpr_spill_count: 0
    .symbol:         _ZL15unary_op_kernelIXadL_ZL12op_hardswishfEEfEvPKT0_PS0_i.kd
    .uniform_work_group_size: 1
    .uses_dynamic_stack: false
    .vgpr_count:     9
    .vgpr_spill_count: 0
    .wavefront_size: 64
  - .args:
      - .address_space:  global
        .offset:         0
        .size:           8
        .value_kind:     global_buffer
      - .address_space:  global
        .offset:         8
        .size:           8
        .value_kind:     global_buffer
      - .offset:         16
        .size:           4
        .value_kind:     by_value
      - .offset:         24
        .size:           4
        .value_kind:     hidden_block_count_x
      - .offset:         28
        .size:           4
        .value_kind:     hidden_block_count_y
      - .offset:         32
        .size:           4
        .value_kind:     hidden_block_count_z
      - .offset:         36
        .size:           2
        .value_kind:     hidden_group_size_x
      - .offset:         38
        .size:           2
        .value_kind:     hidden_group_size_y
      - .offset:         40
        .size:           2
        .value_kind:     hidden_group_size_z
      - .offset:         42
        .size:           2
        .value_kind:     hidden_remainder_x
      - .offset:         44
        .size:           2
        .value_kind:     hidden_remainder_y
      - .offset:         46
        .size:           2
        .value_kind:     hidden_remainder_z
      - .offset:         64
        .size:           8
        .value_kind:     hidden_global_offset_x
      - .offset:         72
        .size:           8
        .value_kind:     hidden_global_offset_y
      - .offset:         80
        .size:           8
        .value_kind:     hidden_global_offset_z
      - .offset:         88
        .size:           2
        .value_kind:     hidden_grid_dims
    .group_segment_fixed_size: 0
    .kernarg_segment_align: 8
    .kernarg_segment_size: 280
    .language:       OpenCL C
    .language_version:
      - 2
      - 0
    .max_flat_workgroup_size: 1024
    .name:           _ZL15unary_op_kernelIXadL_ZL6op_expfEE6__halfEvPKT0_PS1_i
    .private_segment_fixed_size: 0
    .sgpr_count:     11
    .sgpr_spill_count: 0
    .symbol:         _ZL15unary_op_kernelIXadL_ZL6op_expfEE6__halfEvPKT0_PS1_i.kd
    .uniform_work_group_size: 1
    .uses_dynamic_stack: false
    .vgpr_count:     7
    .vgpr_spill_count: 0
    .wavefront_size: 64
  - .args:
      - .address_space:  global
        .offset:         0
        .size:           8
        .value_kind:     global_buffer
      - .address_space:  global
        .offset:         8
        .size:           8
        .value_kind:     global_buffer
      - .offset:         16
        .size:           4
        .value_kind:     by_value
      - .offset:         24
        .size:           4
        .value_kind:     hidden_block_count_x
      - .offset:         28
        .size:           4
        .value_kind:     hidden_block_count_y
      - .offset:         32
        .size:           4
        .value_kind:     hidden_block_count_z
      - .offset:         36
        .size:           2
        .value_kind:     hidden_group_size_x
      - .offset:         38
        .size:           2
        .value_kind:     hidden_group_size_y
      - .offset:         40
        .size:           2
        .value_kind:     hidden_group_size_z
      - .offset:         42
        .size:           2
        .value_kind:     hidden_remainder_x
      - .offset:         44
        .size:           2
        .value_kind:     hidden_remainder_y
      - .offset:         46
        .size:           2
        .value_kind:     hidden_remainder_z
      - .offset:         64
        .size:           8
        .value_kind:     hidden_global_offset_x
      - .offset:         72
        .size:           8
        .value_kind:     hidden_global_offset_y
      - .offset:         80
        .size:           8
        .value_kind:     hidden_global_offset_z
      - .offset:         88
        .size:           2
        .value_kind:     hidden_grid_dims
    .group_segment_fixed_size: 0
    .kernarg_segment_align: 8
    .kernarg_segment_size: 280
    .language:       OpenCL C
    .language_version:
      - 2
      - 0
    .max_flat_workgroup_size: 1024
    .name:           _ZL15unary_op_kernelIXadL_ZL6op_expfEEfEvPKT0_PS0_i
    .private_segment_fixed_size: 0
    .sgpr_count:     11
    .sgpr_spill_count: 0
    .symbol:         _ZL15unary_op_kernelIXadL_ZL6op_expfEEfEvPKT0_PS0_i.kd
    .uniform_work_group_size: 1
    .uses_dynamic_stack: false
    .vgpr_count:     8
    .vgpr_spill_count: 0
    .wavefront_size: 64
  - .args:
      - .address_space:  global
        .offset:         0
        .size:           8
        .value_kind:     global_buffer
      - .address_space:  global
        .offset:         8
        .size:           8
        .value_kind:     global_buffer
      - .offset:         16
        .size:           4
        .value_kind:     by_value
      - .offset:         24
        .size:           4
        .value_kind:     hidden_block_count_x
      - .offset:         28
        .size:           4
        .value_kind:     hidden_block_count_y
      - .offset:         32
        .size:           4
        .value_kind:     hidden_block_count_z
      - .offset:         36
        .size:           2
        .value_kind:     hidden_group_size_x
      - .offset:         38
        .size:           2
        .value_kind:     hidden_group_size_y
      - .offset:         40
        .size:           2
        .value_kind:     hidden_group_size_z
      - .offset:         42
        .size:           2
        .value_kind:     hidden_remainder_x
      - .offset:         44
        .size:           2
        .value_kind:     hidden_remainder_y
      - .offset:         46
        .size:           2
        .value_kind:     hidden_remainder_z
      - .offset:         64
        .size:           8
        .value_kind:     hidden_global_offset_x
      - .offset:         72
        .size:           8
        .value_kind:     hidden_global_offset_y
      - .offset:         80
        .size:           8
        .value_kind:     hidden_global_offset_z
      - .offset:         88
        .size:           2
        .value_kind:     hidden_grid_dims
    .group_segment_fixed_size: 0
    .kernarg_segment_align: 8
    .kernarg_segment_size: 280
    .language:       OpenCL C
    .language_version:
      - 2
      - 0
    .max_flat_workgroup_size: 1024
    .name:           _ZL15unary_op_kernelIXadL_ZL6op_sqrfEE6__halfEvPKT0_PS1_i
    .private_segment_fixed_size: 0
    .sgpr_count:     11
    .sgpr_spill_count: 0
    .symbol:         _ZL15unary_op_kernelIXadL_ZL6op_sqrfEE6__halfEvPKT0_PS1_i.kd
    .uniform_work_group_size: 1
    .uses_dynamic_stack: false
    .vgpr_count:     4
    .vgpr_spill_count: 0
    .wavefront_size: 64
  - .args:
      - .address_space:  global
        .offset:         0
        .size:           8
        .value_kind:     global_buffer
      - .address_space:  global
        .offset:         8
        .size:           8
        .value_kind:     global_buffer
      - .offset:         16
        .size:           4
        .value_kind:     by_value
      - .offset:         24
        .size:           4
        .value_kind:     hidden_block_count_x
      - .offset:         28
        .size:           4
        .value_kind:     hidden_block_count_y
      - .offset:         32
        .size:           4
        .value_kind:     hidden_block_count_z
      - .offset:         36
        .size:           2
        .value_kind:     hidden_group_size_x
      - .offset:         38
        .size:           2
        .value_kind:     hidden_group_size_y
      - .offset:         40
        .size:           2
        .value_kind:     hidden_group_size_z
      - .offset:         42
        .size:           2
        .value_kind:     hidden_remainder_x
      - .offset:         44
        .size:           2
        .value_kind:     hidden_remainder_y
      - .offset:         46
        .size:           2
        .value_kind:     hidden_remainder_z
      - .offset:         64
        .size:           8
        .value_kind:     hidden_global_offset_x
      - .offset:         72
        .size:           8
        .value_kind:     hidden_global_offset_y
      - .offset:         80
        .size:           8
        .value_kind:     hidden_global_offset_z
      - .offset:         88
        .size:           2
        .value_kind:     hidden_grid_dims
    .group_segment_fixed_size: 0
    .kernarg_segment_align: 8
    .kernarg_segment_size: 280
    .language:       OpenCL C
    .language_version:
      - 2
      - 0
    .max_flat_workgroup_size: 1024
    .name:           _ZL15unary_op_kernelIXadL_ZL6op_sqrfEEfEvPKT0_PS0_i
    .private_segment_fixed_size: 0
    .sgpr_count:     11
    .sgpr_spill_count: 0
    .symbol:         _ZL15unary_op_kernelIXadL_ZL6op_sqrfEEfEvPKT0_PS0_i.kd
    .uniform_work_group_size: 1
    .uses_dynamic_stack: false
    .vgpr_count:     4
    .vgpr_spill_count: 0
    .wavefront_size: 64
  - .args:
      - .address_space:  global
        .offset:         0
        .size:           8
        .value_kind:     global_buffer
      - .address_space:  global
        .offset:         8
        .size:           8
        .value_kind:     global_buffer
      - .offset:         16
        .size:           4
        .value_kind:     by_value
      - .offset:         24
        .size:           4
        .value_kind:     hidden_block_count_x
      - .offset:         28
        .size:           4
        .value_kind:     hidden_block_count_y
      - .offset:         32
        .size:           4
        .value_kind:     hidden_block_count_z
      - .offset:         36
        .size:           2
        .value_kind:     hidden_group_size_x
      - .offset:         38
        .size:           2
        .value_kind:     hidden_group_size_y
      - .offset:         40
        .size:           2
        .value_kind:     hidden_group_size_z
      - .offset:         42
        .size:           2
        .value_kind:     hidden_remainder_x
      - .offset:         44
        .size:           2
        .value_kind:     hidden_remainder_y
      - .offset:         46
        .size:           2
        .value_kind:     hidden_remainder_z
      - .offset:         64
        .size:           8
        .value_kind:     hidden_global_offset_x
      - .offset:         72
        .size:           8
        .value_kind:     hidden_global_offset_y
      - .offset:         80
        .size:           8
        .value_kind:     hidden_global_offset_z
      - .offset:         88
        .size:           2
        .value_kind:     hidden_grid_dims
    .group_segment_fixed_size: 0
    .kernarg_segment_align: 8
    .kernarg_segment_size: 280
    .language:       OpenCL C
    .language_version:
      - 2
      - 0
    .max_flat_workgroup_size: 1024
    .name:           _ZL15unary_op_kernelIXadL_ZL7op_sqrtfEE6__halfEvPKT0_PS1_i
    .private_segment_fixed_size: 0
    .sgpr_count:     11
    .sgpr_spill_count: 0
    .symbol:         _ZL15unary_op_kernelIXadL_ZL7op_sqrtfEE6__halfEvPKT0_PS1_i.kd
    .uniform_work_group_size: 1
    .uses_dynamic_stack: false
    .vgpr_count:     8
    .vgpr_spill_count: 0
    .wavefront_size: 64
  - .args:
      - .address_space:  global
        .offset:         0
        .size:           8
        .value_kind:     global_buffer
      - .address_space:  global
        .offset:         8
        .size:           8
        .value_kind:     global_buffer
      - .offset:         16
        .size:           4
        .value_kind:     by_value
      - .offset:         24
        .size:           4
        .value_kind:     hidden_block_count_x
      - .offset:         28
        .size:           4
        .value_kind:     hidden_block_count_y
      - .offset:         32
        .size:           4
        .value_kind:     hidden_block_count_z
      - .offset:         36
        .size:           2
        .value_kind:     hidden_group_size_x
      - .offset:         38
        .size:           2
        .value_kind:     hidden_group_size_y
      - .offset:         40
        .size:           2
        .value_kind:     hidden_group_size_z
      - .offset:         42
        .size:           2
        .value_kind:     hidden_remainder_x
      - .offset:         44
        .size:           2
        .value_kind:     hidden_remainder_y
      - .offset:         46
        .size:           2
        .value_kind:     hidden_remainder_z
      - .offset:         64
        .size:           8
        .value_kind:     hidden_global_offset_x
      - .offset:         72
        .size:           8
        .value_kind:     hidden_global_offset_y
      - .offset:         80
        .size:           8
        .value_kind:     hidden_global_offset_z
      - .offset:         88
        .size:           2
        .value_kind:     hidden_grid_dims
    .group_segment_fixed_size: 0
    .kernarg_segment_align: 8
    .kernarg_segment_size: 280
    .language:       OpenCL C
    .language_version:
      - 2
      - 0
    .max_flat_workgroup_size: 1024
    .name:           _ZL15unary_op_kernelIXadL_ZL7op_sqrtfEEfEvPKT0_PS0_i
    .private_segment_fixed_size: 0
    .sgpr_count:     11
    .sgpr_spill_count: 0
    .symbol:         _ZL15unary_op_kernelIXadL_ZL7op_sqrtfEEfEvPKT0_PS0_i.kd
    .uniform_work_group_size: 1
    .uses_dynamic_stack: false
    .vgpr_count:     9
    .vgpr_spill_count: 0
    .wavefront_size: 64
  - .args:
      - .address_space:  global
        .offset:         0
        .size:           8
        .value_kind:     global_buffer
      - .address_space:  global
        .offset:         8
        .size:           8
        .value_kind:     global_buffer
      - .offset:         16
        .size:           4
        .value_kind:     by_value
      - .offset:         24
        .size:           4
        .value_kind:     hidden_block_count_x
      - .offset:         28
        .size:           4
        .value_kind:     hidden_block_count_y
      - .offset:         32
        .size:           4
        .value_kind:     hidden_block_count_z
      - .offset:         36
        .size:           2
        .value_kind:     hidden_group_size_x
      - .offset:         38
        .size:           2
        .value_kind:     hidden_group_size_y
      - .offset:         40
        .size:           2
        .value_kind:     hidden_group_size_z
      - .offset:         42
        .size:           2
        .value_kind:     hidden_remainder_x
      - .offset:         44
        .size:           2
        .value_kind:     hidden_remainder_y
      - .offset:         46
        .size:           2
        .value_kind:     hidden_remainder_z
      - .offset:         64
        .size:           8
        .value_kind:     hidden_global_offset_x
      - .offset:         72
        .size:           8
        .value_kind:     hidden_global_offset_y
      - .offset:         80
        .size:           8
        .value_kind:     hidden_global_offset_z
      - .offset:         88
        .size:           2
        .value_kind:     hidden_grid_dims
    .group_segment_fixed_size: 0
    .kernarg_segment_align: 8
    .kernarg_segment_size: 280
    .language:       OpenCL C
    .language_version:
      - 2
      - 0
    .max_flat_workgroup_size: 1024
    .name:           _ZL15unary_op_kernelIXadL_ZL6op_sinfEE6__halfEvPKT0_PS1_i
    .private_segment_fixed_size: 0
    .sgpr_count:     14
    .sgpr_spill_count: 0
    .symbol:         _ZL15unary_op_kernelIXadL_ZL6op_sinfEE6__halfEvPKT0_PS1_i.kd
    .uniform_work_group_size: 1
    .uses_dynamic_stack: false
    .vgpr_count:     16
    .vgpr_spill_count: 0
    .wavefront_size: 64
  - .args:
      - .address_space:  global
        .offset:         0
        .size:           8
        .value_kind:     global_buffer
      - .address_space:  global
        .offset:         8
        .size:           8
        .value_kind:     global_buffer
      - .offset:         16
        .size:           4
        .value_kind:     by_value
      - .offset:         24
        .size:           4
        .value_kind:     hidden_block_count_x
      - .offset:         28
        .size:           4
        .value_kind:     hidden_block_count_y
      - .offset:         32
        .size:           4
        .value_kind:     hidden_block_count_z
      - .offset:         36
        .size:           2
        .value_kind:     hidden_group_size_x
      - .offset:         38
        .size:           2
        .value_kind:     hidden_group_size_y
      - .offset:         40
        .size:           2
        .value_kind:     hidden_group_size_z
      - .offset:         42
        .size:           2
        .value_kind:     hidden_remainder_x
      - .offset:         44
        .size:           2
        .value_kind:     hidden_remainder_y
      - .offset:         46
        .size:           2
        .value_kind:     hidden_remainder_z
      - .offset:         64
        .size:           8
        .value_kind:     hidden_global_offset_x
      - .offset:         72
        .size:           8
        .value_kind:     hidden_global_offset_y
      - .offset:         80
        .size:           8
        .value_kind:     hidden_global_offset_z
      - .offset:         88
        .size:           2
        .value_kind:     hidden_grid_dims
    .group_segment_fixed_size: 0
    .kernarg_segment_align: 8
    .kernarg_segment_size: 280
    .language:       OpenCL C
    .language_version:
      - 2
      - 0
    .max_flat_workgroup_size: 1024
    .name:           _ZL15unary_op_kernelIXadL_ZL6op_sinfEEfEvPKT0_PS0_i
    .private_segment_fixed_size: 0
    .sgpr_count:     14
    .sgpr_spill_count: 0
    .symbol:         _ZL15unary_op_kernelIXadL_ZL6op_sinfEEfEvPKT0_PS0_i.kd
    .uniform_work_group_size: 1
    .uses_dynamic_stack: false
    .vgpr_count:     16
    .vgpr_spill_count: 0
    .wavefront_size: 64
  - .args:
      - .address_space:  global
        .offset:         0
        .size:           8
        .value_kind:     global_buffer
      - .address_space:  global
        .offset:         8
        .size:           8
        .value_kind:     global_buffer
      - .offset:         16
        .size:           4
        .value_kind:     by_value
      - .offset:         24
        .size:           4
        .value_kind:     hidden_block_count_x
      - .offset:         28
        .size:           4
        .value_kind:     hidden_block_count_y
      - .offset:         32
        .size:           4
        .value_kind:     hidden_block_count_z
      - .offset:         36
        .size:           2
        .value_kind:     hidden_group_size_x
      - .offset:         38
        .size:           2
        .value_kind:     hidden_group_size_y
      - .offset:         40
        .size:           2
        .value_kind:     hidden_group_size_z
      - .offset:         42
        .size:           2
        .value_kind:     hidden_remainder_x
      - .offset:         44
        .size:           2
        .value_kind:     hidden_remainder_y
      - .offset:         46
        .size:           2
        .value_kind:     hidden_remainder_z
      - .offset:         64
        .size:           8
        .value_kind:     hidden_global_offset_x
      - .offset:         72
        .size:           8
        .value_kind:     hidden_global_offset_y
      - .offset:         80
        .size:           8
        .value_kind:     hidden_global_offset_z
      - .offset:         88
        .size:           2
        .value_kind:     hidden_grid_dims
    .group_segment_fixed_size: 0
    .kernarg_segment_align: 8
    .kernarg_segment_size: 280
    .language:       OpenCL C
    .language_version:
      - 2
      - 0
    .max_flat_workgroup_size: 1024
    .name:           _ZL15unary_op_kernelIXadL_ZL6op_cosfEE6__halfEvPKT0_PS1_i
    .private_segment_fixed_size: 0
    .sgpr_count:     14
    .sgpr_spill_count: 0
    .symbol:         _ZL15unary_op_kernelIXadL_ZL6op_cosfEE6__halfEvPKT0_PS1_i.kd
    .uniform_work_group_size: 1
    .uses_dynamic_stack: false
    .vgpr_count:     15
    .vgpr_spill_count: 0
    .wavefront_size: 64
  - .args:
      - .address_space:  global
        .offset:         0
        .size:           8
        .value_kind:     global_buffer
      - .address_space:  global
        .offset:         8
        .size:           8
        .value_kind:     global_buffer
      - .offset:         16
        .size:           4
        .value_kind:     by_value
      - .offset:         24
        .size:           4
        .value_kind:     hidden_block_count_x
      - .offset:         28
        .size:           4
        .value_kind:     hidden_block_count_y
      - .offset:         32
        .size:           4
        .value_kind:     hidden_block_count_z
      - .offset:         36
        .size:           2
        .value_kind:     hidden_group_size_x
      - .offset:         38
        .size:           2
        .value_kind:     hidden_group_size_y
      - .offset:         40
        .size:           2
        .value_kind:     hidden_group_size_z
      - .offset:         42
        .size:           2
        .value_kind:     hidden_remainder_x
      - .offset:         44
        .size:           2
        .value_kind:     hidden_remainder_y
      - .offset:         46
        .size:           2
        .value_kind:     hidden_remainder_z
      - .offset:         64
        .size:           8
        .value_kind:     hidden_global_offset_x
      - .offset:         72
        .size:           8
        .value_kind:     hidden_global_offset_y
      - .offset:         80
        .size:           8
        .value_kind:     hidden_global_offset_z
      - .offset:         88
        .size:           2
        .value_kind:     hidden_grid_dims
    .group_segment_fixed_size: 0
    .kernarg_segment_align: 8
    .kernarg_segment_size: 280
    .language:       OpenCL C
    .language_version:
      - 2
      - 0
    .max_flat_workgroup_size: 1024
    .name:           _ZL15unary_op_kernelIXadL_ZL6op_cosfEEfEvPKT0_PS0_i
    .private_segment_fixed_size: 0
    .sgpr_count:     14
    .sgpr_spill_count: 0
    .symbol:         _ZL15unary_op_kernelIXadL_ZL6op_cosfEEfEvPKT0_PS0_i.kd
    .uniform_work_group_size: 1
    .uses_dynamic_stack: false
    .vgpr_count:     15
    .vgpr_spill_count: 0
    .wavefront_size: 64
  - .args:
      - .address_space:  global
        .offset:         0
        .size:           8
        .value_kind:     global_buffer
      - .address_space:  global
        .offset:         8
        .size:           8
        .value_kind:     global_buffer
      - .offset:         16
        .size:           4
        .value_kind:     by_value
      - .offset:         24
        .size:           4
        .value_kind:     hidden_block_count_x
      - .offset:         28
        .size:           4
        .value_kind:     hidden_block_count_y
      - .offset:         32
        .size:           4
        .value_kind:     hidden_block_count_z
      - .offset:         36
        .size:           2
        .value_kind:     hidden_group_size_x
      - .offset:         38
        .size:           2
        .value_kind:     hidden_group_size_y
      - .offset:         40
        .size:           2
        .value_kind:     hidden_group_size_z
      - .offset:         42
        .size:           2
        .value_kind:     hidden_remainder_x
      - .offset:         44
        .size:           2
        .value_kind:     hidden_remainder_y
      - .offset:         46
        .size:           2
        .value_kind:     hidden_remainder_z
      - .offset:         64
        .size:           8
        .value_kind:     hidden_global_offset_x
      - .offset:         72
        .size:           8
        .value_kind:     hidden_global_offset_y
      - .offset:         80
        .size:           8
        .value_kind:     hidden_global_offset_z
      - .offset:         88
        .size:           2
        .value_kind:     hidden_grid_dims
    .group_segment_fixed_size: 0
    .kernarg_segment_align: 8
    .kernarg_segment_size: 280
    .language:       OpenCL C
    .language_version:
      - 2
      - 0
    .max_flat_workgroup_size: 1024
    .name:           _ZL15unary_op_kernelIXadL_ZL6op_logfEE6__halfEvPKT0_PS1_i
    .private_segment_fixed_size: 0
    .sgpr_count:     11
    .sgpr_spill_count: 0
    .symbol:         _ZL15unary_op_kernelIXadL_ZL6op_logfEE6__halfEvPKT0_PS1_i.kd
    .uniform_work_group_size: 1
    .uses_dynamic_stack: false
    .vgpr_count:     5
    .vgpr_spill_count: 0
    .wavefront_size: 64
  - .args:
      - .address_space:  global
        .offset:         0
        .size:           8
        .value_kind:     global_buffer
      - .address_space:  global
        .offset:         8
        .size:           8
        .value_kind:     global_buffer
      - .offset:         16
        .size:           4
        .value_kind:     by_value
      - .offset:         24
        .size:           4
        .value_kind:     hidden_block_count_x
      - .offset:         28
        .size:           4
        .value_kind:     hidden_block_count_y
      - .offset:         32
        .size:           4
        .value_kind:     hidden_block_count_z
      - .offset:         36
        .size:           2
        .value_kind:     hidden_group_size_x
      - .offset:         38
        .size:           2
        .value_kind:     hidden_group_size_y
      - .offset:         40
        .size:           2
        .value_kind:     hidden_group_size_z
      - .offset:         42
        .size:           2
        .value_kind:     hidden_remainder_x
      - .offset:         44
        .size:           2
        .value_kind:     hidden_remainder_y
      - .offset:         46
        .size:           2
        .value_kind:     hidden_remainder_z
      - .offset:         64
        .size:           8
        .value_kind:     hidden_global_offset_x
      - .offset:         72
        .size:           8
        .value_kind:     hidden_global_offset_y
      - .offset:         80
        .size:           8
        .value_kind:     hidden_global_offset_z
      - .offset:         88
        .size:           2
        .value_kind:     hidden_grid_dims
    .group_segment_fixed_size: 0
    .kernarg_segment_align: 8
    .kernarg_segment_size: 280
    .language:       OpenCL C
    .language_version:
      - 2
      - 0
    .max_flat_workgroup_size: 1024
    .name:           _ZL15unary_op_kernelIXadL_ZL6op_logfEEfEvPKT0_PS0_i
    .private_segment_fixed_size: 0
    .sgpr_count:     11
    .sgpr_spill_count: 0
    .symbol:         _ZL15unary_op_kernelIXadL_ZL6op_logfEEfEvPKT0_PS0_i.kd
    .uniform_work_group_size: 1
    .uses_dynamic_stack: false
    .vgpr_count:     6
    .vgpr_spill_count: 0
    .wavefront_size: 64
  - .args:
      - .address_space:  global
        .offset:         0
        .size:           8
        .value_kind:     global_buffer
      - .address_space:  global
        .offset:         8
        .size:           8
        .value_kind:     global_buffer
      - .offset:         16
        .size:           4
        .value_kind:     by_value
      - .offset:         24
        .size:           4
        .value_kind:     hidden_block_count_x
      - .offset:         28
        .size:           4
        .value_kind:     hidden_block_count_y
      - .offset:         32
        .size:           4
        .value_kind:     hidden_block_count_z
      - .offset:         36
        .size:           2
        .value_kind:     hidden_group_size_x
      - .offset:         38
        .size:           2
        .value_kind:     hidden_group_size_y
      - .offset:         40
        .size:           2
        .value_kind:     hidden_group_size_z
      - .offset:         42
        .size:           2
        .value_kind:     hidden_remainder_x
      - .offset:         44
        .size:           2
        .value_kind:     hidden_remainder_y
      - .offset:         46
        .size:           2
        .value_kind:     hidden_remainder_z
      - .offset:         64
        .size:           8
        .value_kind:     hidden_global_offset_x
      - .offset:         72
        .size:           8
        .value_kind:     hidden_global_offset_y
      - .offset:         80
        .size:           8
        .value_kind:     hidden_global_offset_z
      - .offset:         88
        .size:           2
        .value_kind:     hidden_grid_dims
    .group_segment_fixed_size: 0
    .kernarg_segment_align: 8
    .kernarg_segment_size: 280
    .language:       OpenCL C
    .language_version:
      - 2
      - 0
    .max_flat_workgroup_size: 1024
    .name:           _ZL15unary_op_kernelIXadL_ZL6op_elufEE6__halfEvPKT0_PS1_i
    .private_segment_fixed_size: 0
    .sgpr_count:     11
    .sgpr_spill_count: 0
    .symbol:         _ZL15unary_op_kernelIXadL_ZL6op_elufEE6__halfEvPKT0_PS1_i.kd
    .uniform_work_group_size: 1
    .uses_dynamic_stack: false
    .vgpr_count:     7
    .vgpr_spill_count: 0
    .wavefront_size: 64
  - .args:
      - .address_space:  global
        .offset:         0
        .size:           8
        .value_kind:     global_buffer
      - .address_space:  global
        .offset:         8
        .size:           8
        .value_kind:     global_buffer
      - .offset:         16
        .size:           4
        .value_kind:     by_value
      - .offset:         24
        .size:           4
        .value_kind:     hidden_block_count_x
      - .offset:         28
        .size:           4
        .value_kind:     hidden_block_count_y
      - .offset:         32
        .size:           4
        .value_kind:     hidden_block_count_z
      - .offset:         36
        .size:           2
        .value_kind:     hidden_group_size_x
      - .offset:         38
        .size:           2
        .value_kind:     hidden_group_size_y
      - .offset:         40
        .size:           2
        .value_kind:     hidden_group_size_z
      - .offset:         42
        .size:           2
        .value_kind:     hidden_remainder_x
      - .offset:         44
        .size:           2
        .value_kind:     hidden_remainder_y
      - .offset:         46
        .size:           2
        .value_kind:     hidden_remainder_z
      - .offset:         64
        .size:           8
        .value_kind:     hidden_global_offset_x
      - .offset:         72
        .size:           8
        .value_kind:     hidden_global_offset_y
      - .offset:         80
        .size:           8
        .value_kind:     hidden_global_offset_z
      - .offset:         88
        .size:           2
        .value_kind:     hidden_grid_dims
    .group_segment_fixed_size: 0
    .kernarg_segment_align: 8
    .kernarg_segment_size: 280
    .language:       OpenCL C
    .language_version:
      - 2
      - 0
    .max_flat_workgroup_size: 1024
    .name:           _ZL15unary_op_kernelIXadL_ZL6op_elufEEfEvPKT0_PS0_i
    .private_segment_fixed_size: 0
    .sgpr_count:     11
    .sgpr_spill_count: 0
    .symbol:         _ZL15unary_op_kernelIXadL_ZL6op_elufEEfEvPKT0_PS0_i.kd
    .uniform_work_group_size: 1
    .uses_dynamic_stack: false
    .vgpr_count:     7
    .vgpr_spill_count: 0
    .wavefront_size: 64
  - .args:
      - .address_space:  global
        .offset:         0
        .size:           8
        .value_kind:     global_buffer
      - .address_space:  global
        .offset:         8
        .size:           8
        .value_kind:     global_buffer
      - .offset:         16
        .size:           4
        .value_kind:     by_value
      - .offset:         24
        .size:           4
        .value_kind:     hidden_block_count_x
      - .offset:         28
        .size:           4
        .value_kind:     hidden_block_count_y
      - .offset:         32
        .size:           4
        .value_kind:     hidden_block_count_z
      - .offset:         36
        .size:           2
        .value_kind:     hidden_group_size_x
      - .offset:         38
        .size:           2
        .value_kind:     hidden_group_size_y
      - .offset:         40
        .size:           2
        .value_kind:     hidden_group_size_z
      - .offset:         42
        .size:           2
        .value_kind:     hidden_remainder_x
      - .offset:         44
        .size:           2
        .value_kind:     hidden_remainder_y
      - .offset:         46
        .size:           2
        .value_kind:     hidden_remainder_z
      - .offset:         64
        .size:           8
        .value_kind:     hidden_global_offset_x
      - .offset:         72
        .size:           8
        .value_kind:     hidden_global_offset_y
      - .offset:         80
        .size:           8
        .value_kind:     hidden_global_offset_z
      - .offset:         88
        .size:           2
        .value_kind:     hidden_grid_dims
    .group_segment_fixed_size: 0
    .kernarg_segment_align: 8
    .kernarg_segment_size: 280
    .language:       OpenCL C
    .language_version:
      - 2
      - 0
    .max_flat_workgroup_size: 1024
    .name:           _ZL15unary_op_kernelIXadL_ZL8op_floorfEE6__halfEvPKT0_PS1_i
    .private_segment_fixed_size: 0
    .sgpr_count:     11
    .sgpr_spill_count: 0
    .symbol:         _ZL15unary_op_kernelIXadL_ZL8op_floorfEE6__halfEvPKT0_PS1_i.kd
    .uniform_work_group_size: 1
    .uses_dynamic_stack: false
    .vgpr_count:     4
    .vgpr_spill_count: 0
    .wavefront_size: 64
  - .args:
      - .address_space:  global
        .offset:         0
        .size:           8
        .value_kind:     global_buffer
      - .address_space:  global
        .offset:         8
        .size:           8
        .value_kind:     global_buffer
      - .offset:         16
        .size:           4
        .value_kind:     by_value
      - .offset:         24
        .size:           4
        .value_kind:     hidden_block_count_x
      - .offset:         28
        .size:           4
        .value_kind:     hidden_block_count_y
      - .offset:         32
        .size:           4
        .value_kind:     hidden_block_count_z
      - .offset:         36
        .size:           2
        .value_kind:     hidden_group_size_x
      - .offset:         38
        .size:           2
        .value_kind:     hidden_group_size_y
      - .offset:         40
        .size:           2
        .value_kind:     hidden_group_size_z
      - .offset:         42
        .size:           2
        .value_kind:     hidden_remainder_x
      - .offset:         44
        .size:           2
        .value_kind:     hidden_remainder_y
      - .offset:         46
        .size:           2
        .value_kind:     hidden_remainder_z
      - .offset:         64
        .size:           8
        .value_kind:     hidden_global_offset_x
      - .offset:         72
        .size:           8
        .value_kind:     hidden_global_offset_y
      - .offset:         80
        .size:           8
        .value_kind:     hidden_global_offset_z
      - .offset:         88
        .size:           2
        .value_kind:     hidden_grid_dims
    .group_segment_fixed_size: 0
    .kernarg_segment_align: 8
    .kernarg_segment_size: 280
    .language:       OpenCL C
    .language_version:
      - 2
      - 0
    .max_flat_workgroup_size: 1024
    .name:           _ZL15unary_op_kernelIXadL_ZL8op_floorfEEfEvPKT0_PS0_i
    .private_segment_fixed_size: 0
    .sgpr_count:     11
    .sgpr_spill_count: 0
    .symbol:         _ZL15unary_op_kernelIXadL_ZL8op_floorfEEfEvPKT0_PS0_i.kd
    .uniform_work_group_size: 1
    .uses_dynamic_stack: false
    .vgpr_count:     4
    .vgpr_spill_count: 0
    .wavefront_size: 64
  - .args:
      - .address_space:  global
        .offset:         0
        .size:           8
        .value_kind:     global_buffer
      - .address_space:  global
        .offset:         8
        .size:           8
        .value_kind:     global_buffer
      - .offset:         16
        .size:           4
        .value_kind:     by_value
      - .offset:         24
        .size:           4
        .value_kind:     hidden_block_count_x
      - .offset:         28
        .size:           4
        .value_kind:     hidden_block_count_y
      - .offset:         32
        .size:           4
        .value_kind:     hidden_block_count_z
      - .offset:         36
        .size:           2
        .value_kind:     hidden_group_size_x
      - .offset:         38
        .size:           2
        .value_kind:     hidden_group_size_y
      - .offset:         40
        .size:           2
        .value_kind:     hidden_group_size_z
      - .offset:         42
        .size:           2
        .value_kind:     hidden_remainder_x
      - .offset:         44
        .size:           2
        .value_kind:     hidden_remainder_y
      - .offset:         46
        .size:           2
        .value_kind:     hidden_remainder_z
      - .offset:         64
        .size:           8
        .value_kind:     hidden_global_offset_x
      - .offset:         72
        .size:           8
        .value_kind:     hidden_global_offset_y
      - .offset:         80
        .size:           8
        .value_kind:     hidden_global_offset_z
      - .offset:         88
        .size:           2
        .value_kind:     hidden_grid_dims
    .group_segment_fixed_size: 0
    .kernarg_segment_align: 8
    .kernarg_segment_size: 280
    .language:       OpenCL C
    .language_version:
      - 2
      - 0
    .max_flat_workgroup_size: 1024
    .name:           _ZL15unary_op_kernelIXadL_ZL7op_ceilfEE6__halfEvPKT0_PS1_i
    .private_segment_fixed_size: 0
    .sgpr_count:     11
    .sgpr_spill_count: 0
    .symbol:         _ZL15unary_op_kernelIXadL_ZL7op_ceilfEE6__halfEvPKT0_PS1_i.kd
    .uniform_work_group_size: 1
    .uses_dynamic_stack: false
    .vgpr_count:     4
    .vgpr_spill_count: 0
    .wavefront_size: 64
  - .args:
      - .address_space:  global
        .offset:         0
        .size:           8
        .value_kind:     global_buffer
      - .address_space:  global
        .offset:         8
        .size:           8
        .value_kind:     global_buffer
      - .offset:         16
        .size:           4
        .value_kind:     by_value
      - .offset:         24
        .size:           4
        .value_kind:     hidden_block_count_x
      - .offset:         28
        .size:           4
        .value_kind:     hidden_block_count_y
      - .offset:         32
        .size:           4
        .value_kind:     hidden_block_count_z
      - .offset:         36
        .size:           2
        .value_kind:     hidden_group_size_x
      - .offset:         38
        .size:           2
        .value_kind:     hidden_group_size_y
      - .offset:         40
        .size:           2
        .value_kind:     hidden_group_size_z
      - .offset:         42
        .size:           2
        .value_kind:     hidden_remainder_x
      - .offset:         44
        .size:           2
        .value_kind:     hidden_remainder_y
      - .offset:         46
        .size:           2
        .value_kind:     hidden_remainder_z
      - .offset:         64
        .size:           8
        .value_kind:     hidden_global_offset_x
      - .offset:         72
        .size:           8
        .value_kind:     hidden_global_offset_y
      - .offset:         80
        .size:           8
        .value_kind:     hidden_global_offset_z
      - .offset:         88
        .size:           2
        .value_kind:     hidden_grid_dims
    .group_segment_fixed_size: 0
    .kernarg_segment_align: 8
    .kernarg_segment_size: 280
    .language:       OpenCL C
    .language_version:
      - 2
      - 0
    .max_flat_workgroup_size: 1024
    .name:           _ZL15unary_op_kernelIXadL_ZL7op_ceilfEEfEvPKT0_PS0_i
    .private_segment_fixed_size: 0
    .sgpr_count:     11
    .sgpr_spill_count: 0
    .symbol:         _ZL15unary_op_kernelIXadL_ZL7op_ceilfEEfEvPKT0_PS0_i.kd
    .uniform_work_group_size: 1
    .uses_dynamic_stack: false
    .vgpr_count:     4
    .vgpr_spill_count: 0
    .wavefront_size: 64
  - .args:
      - .address_space:  global
        .offset:         0
        .size:           8
        .value_kind:     global_buffer
      - .address_space:  global
        .offset:         8
        .size:           8
        .value_kind:     global_buffer
      - .offset:         16
        .size:           4
        .value_kind:     by_value
      - .offset:         24
        .size:           4
        .value_kind:     hidden_block_count_x
      - .offset:         28
        .size:           4
        .value_kind:     hidden_block_count_y
      - .offset:         32
        .size:           4
        .value_kind:     hidden_block_count_z
      - .offset:         36
        .size:           2
        .value_kind:     hidden_group_size_x
      - .offset:         38
        .size:           2
        .value_kind:     hidden_group_size_y
      - .offset:         40
        .size:           2
        .value_kind:     hidden_group_size_z
      - .offset:         42
        .size:           2
        .value_kind:     hidden_remainder_x
      - .offset:         44
        .size:           2
        .value_kind:     hidden_remainder_y
      - .offset:         46
        .size:           2
        .value_kind:     hidden_remainder_z
      - .offset:         64
        .size:           8
        .value_kind:     hidden_global_offset_x
      - .offset:         72
        .size:           8
        .value_kind:     hidden_global_offset_y
      - .offset:         80
        .size:           8
        .value_kind:     hidden_global_offset_z
      - .offset:         88
        .size:           2
        .value_kind:     hidden_grid_dims
    .group_segment_fixed_size: 0
    .kernarg_segment_align: 8
    .kernarg_segment_size: 280
    .language:       OpenCL C
    .language_version:
      - 2
      - 0
    .max_flat_workgroup_size: 1024
    .name:           _ZL15unary_op_kernelIXadL_ZL8op_roundfEE6__halfEvPKT0_PS1_i
    .private_segment_fixed_size: 0
    .sgpr_count:     11
    .sgpr_spill_count: 0
    .symbol:         _ZL15unary_op_kernelIXadL_ZL8op_roundfEE6__halfEvPKT0_PS1_i.kd
    .uniform_work_group_size: 1
    .uses_dynamic_stack: false
    .vgpr_count:     7
    .vgpr_spill_count: 0
    .wavefront_size: 64
  - .args:
      - .address_space:  global
        .offset:         0
        .size:           8
        .value_kind:     global_buffer
      - .address_space:  global
        .offset:         8
        .size:           8
        .value_kind:     global_buffer
      - .offset:         16
        .size:           4
        .value_kind:     by_value
      - .offset:         24
        .size:           4
        .value_kind:     hidden_block_count_x
      - .offset:         28
        .size:           4
        .value_kind:     hidden_block_count_y
      - .offset:         32
        .size:           4
        .value_kind:     hidden_block_count_z
      - .offset:         36
        .size:           2
        .value_kind:     hidden_group_size_x
      - .offset:         38
        .size:           2
        .value_kind:     hidden_group_size_y
      - .offset:         40
        .size:           2
        .value_kind:     hidden_group_size_z
      - .offset:         42
        .size:           2
        .value_kind:     hidden_remainder_x
      - .offset:         44
        .size:           2
        .value_kind:     hidden_remainder_y
      - .offset:         46
        .size:           2
        .value_kind:     hidden_remainder_z
      - .offset:         64
        .size:           8
        .value_kind:     hidden_global_offset_x
      - .offset:         72
        .size:           8
        .value_kind:     hidden_global_offset_y
      - .offset:         80
        .size:           8
        .value_kind:     hidden_global_offset_z
      - .offset:         88
        .size:           2
        .value_kind:     hidden_grid_dims
    .group_segment_fixed_size: 0
    .kernarg_segment_align: 8
    .kernarg_segment_size: 280
    .language:       OpenCL C
    .language_version:
      - 2
      - 0
    .max_flat_workgroup_size: 1024
    .name:           _ZL15unary_op_kernelIXadL_ZL8op_roundfEEfEvPKT0_PS0_i
    .private_segment_fixed_size: 0
    .sgpr_count:     11
    .sgpr_spill_count: 0
    .symbol:         _ZL15unary_op_kernelIXadL_ZL8op_roundfEEfEvPKT0_PS0_i.kd
    .uniform_work_group_size: 1
    .uses_dynamic_stack: false
    .vgpr_count:     5
    .vgpr_spill_count: 0
    .wavefront_size: 64
  - .args:
      - .address_space:  global
        .offset:         0
        .size:           8
        .value_kind:     global_buffer
      - .address_space:  global
        .offset:         8
        .size:           8
        .value_kind:     global_buffer
      - .offset:         16
        .size:           4
        .value_kind:     by_value
      - .offset:         24
        .size:           4
        .value_kind:     hidden_block_count_x
      - .offset:         28
        .size:           4
        .value_kind:     hidden_block_count_y
      - .offset:         32
        .size:           4
        .value_kind:     hidden_block_count_z
      - .offset:         36
        .size:           2
        .value_kind:     hidden_group_size_x
      - .offset:         38
        .size:           2
        .value_kind:     hidden_group_size_y
      - .offset:         40
        .size:           2
        .value_kind:     hidden_group_size_z
      - .offset:         42
        .size:           2
        .value_kind:     hidden_remainder_x
      - .offset:         44
        .size:           2
        .value_kind:     hidden_remainder_y
      - .offset:         46
        .size:           2
        .value_kind:     hidden_remainder_z
      - .offset:         64
        .size:           8
        .value_kind:     hidden_global_offset_x
      - .offset:         72
        .size:           8
        .value_kind:     hidden_global_offset_y
      - .offset:         80
        .size:           8
        .value_kind:     hidden_global_offset_z
      - .offset:         88
        .size:           2
        .value_kind:     hidden_grid_dims
    .group_segment_fixed_size: 0
    .kernarg_segment_align: 8
    .kernarg_segment_size: 280
    .language:       OpenCL C
    .language_version:
      - 2
      - 0
    .max_flat_workgroup_size: 1024
    .name:           _ZL15unary_op_kernelIXadL_ZL8op_truncfEE6__halfEvPKT0_PS1_i
    .private_segment_fixed_size: 0
    .sgpr_count:     11
    .sgpr_spill_count: 0
    .symbol:         _ZL15unary_op_kernelIXadL_ZL8op_truncfEE6__halfEvPKT0_PS1_i.kd
    .uniform_work_group_size: 1
    .uses_dynamic_stack: false
    .vgpr_count:     4
    .vgpr_spill_count: 0
    .wavefront_size: 64
  - .args:
      - .address_space:  global
        .offset:         0
        .size:           8
        .value_kind:     global_buffer
      - .address_space:  global
        .offset:         8
        .size:           8
        .value_kind:     global_buffer
      - .offset:         16
        .size:           4
        .value_kind:     by_value
      - .offset:         24
        .size:           4
        .value_kind:     hidden_block_count_x
      - .offset:         28
        .size:           4
        .value_kind:     hidden_block_count_y
      - .offset:         32
        .size:           4
        .value_kind:     hidden_block_count_z
      - .offset:         36
        .size:           2
        .value_kind:     hidden_group_size_x
      - .offset:         38
        .size:           2
        .value_kind:     hidden_group_size_y
      - .offset:         40
        .size:           2
        .value_kind:     hidden_group_size_z
      - .offset:         42
        .size:           2
        .value_kind:     hidden_remainder_x
      - .offset:         44
        .size:           2
        .value_kind:     hidden_remainder_y
      - .offset:         46
        .size:           2
        .value_kind:     hidden_remainder_z
      - .offset:         64
        .size:           8
        .value_kind:     hidden_global_offset_x
      - .offset:         72
        .size:           8
        .value_kind:     hidden_global_offset_y
      - .offset:         80
        .size:           8
        .value_kind:     hidden_global_offset_z
      - .offset:         88
        .size:           2
        .value_kind:     hidden_grid_dims
    .group_segment_fixed_size: 0
    .kernarg_segment_align: 8
    .kernarg_segment_size: 280
    .language:       OpenCL C
    .language_version:
      - 2
      - 0
    .max_flat_workgroup_size: 1024
    .name:           _ZL15unary_op_kernelIXadL_ZL8op_truncfEEfEvPKT0_PS0_i
    .private_segment_fixed_size: 0
    .sgpr_count:     11
    .sgpr_spill_count: 0
    .symbol:         _ZL15unary_op_kernelIXadL_ZL8op_truncfEEfEvPKT0_PS0_i.kd
    .uniform_work_group_size: 1
    .uses_dynamic_stack: false
    .vgpr_count:     4
    .vgpr_spill_count: 0
    .wavefront_size: 64
  - .args:
      - .address_space:  global
        .offset:         0
        .size:           8
        .value_kind:     global_buffer
      - .address_space:  global
        .offset:         8
        .size:           8
        .value_kind:     global_buffer
      - .offset:         16
        .size:           4
        .value_kind:     by_value
      - .offset:         24
        .size:           4
        .value_kind:     hidden_block_count_x
      - .offset:         28
        .size:           4
        .value_kind:     hidden_block_count_y
      - .offset:         32
        .size:           4
        .value_kind:     hidden_block_count_z
      - .offset:         36
        .size:           2
        .value_kind:     hidden_group_size_x
      - .offset:         38
        .size:           2
        .value_kind:     hidden_group_size_y
      - .offset:         40
        .size:           2
        .value_kind:     hidden_group_size_z
      - .offset:         42
        .size:           2
        .value_kind:     hidden_remainder_x
      - .offset:         44
        .size:           2
        .value_kind:     hidden_remainder_y
      - .offset:         46
        .size:           2
        .value_kind:     hidden_remainder_z
      - .offset:         64
        .size:           8
        .value_kind:     hidden_global_offset_x
      - .offset:         72
        .size:           8
        .value_kind:     hidden_global_offset_y
      - .offset:         80
        .size:           8
        .value_kind:     hidden_global_offset_z
      - .offset:         88
        .size:           2
        .value_kind:     hidden_grid_dims
    .group_segment_fixed_size: 0
    .kernarg_segment_align: 8
    .kernarg_segment_size: 280
    .language:       OpenCL C
    .language_version:
      - 2
      - 0
    .max_flat_workgroup_size: 1024
    .name:           _ZL15unary_op_kernelIXadL_ZL8op_expm1fEE6__halfEvPKT0_PS1_i
    .private_segment_fixed_size: 0
    .sgpr_count:     11
    .sgpr_spill_count: 0
    .symbol:         _ZL15unary_op_kernelIXadL_ZL8op_expm1fEE6__halfEvPKT0_PS1_i.kd
    .uniform_work_group_size: 1
    .uses_dynamic_stack: false
    .vgpr_count:     13
    .vgpr_spill_count: 0
    .wavefront_size: 64
  - .args:
      - .address_space:  global
        .offset:         0
        .size:           8
        .value_kind:     global_buffer
      - .address_space:  global
        .offset:         8
        .size:           8
        .value_kind:     global_buffer
      - .offset:         16
        .size:           4
        .value_kind:     by_value
      - .offset:         24
        .size:           4
        .value_kind:     hidden_block_count_x
      - .offset:         28
        .size:           4
        .value_kind:     hidden_block_count_y
      - .offset:         32
        .size:           4
        .value_kind:     hidden_block_count_z
      - .offset:         36
        .size:           2
        .value_kind:     hidden_group_size_x
      - .offset:         38
        .size:           2
        .value_kind:     hidden_group_size_y
      - .offset:         40
        .size:           2
        .value_kind:     hidden_group_size_z
      - .offset:         42
        .size:           2
        .value_kind:     hidden_remainder_x
      - .offset:         44
        .size:           2
        .value_kind:     hidden_remainder_y
      - .offset:         46
        .size:           2
        .value_kind:     hidden_remainder_z
      - .offset:         64
        .size:           8
        .value_kind:     hidden_global_offset_x
      - .offset:         72
        .size:           8
        .value_kind:     hidden_global_offset_y
      - .offset:         80
        .size:           8
        .value_kind:     hidden_global_offset_z
      - .offset:         88
        .size:           2
        .value_kind:     hidden_grid_dims
    .group_segment_fixed_size: 0
    .kernarg_segment_align: 8
    .kernarg_segment_size: 280
    .language:       OpenCL C
    .language_version:
      - 2
      - 0
    .max_flat_workgroup_size: 1024
    .name:           _ZL15unary_op_kernelIXadL_ZL8op_expm1fEEfEvPKT0_PS0_i
    .private_segment_fixed_size: 0
    .sgpr_count:     11
    .sgpr_spill_count: 0
    .symbol:         _ZL15unary_op_kernelIXadL_ZL8op_expm1fEEfEvPKT0_PS0_i.kd
    .uniform_work_group_size: 1
    .uses_dynamic_stack: false
    .vgpr_count:     13
    .vgpr_spill_count: 0
    .wavefront_size: 64
  - .args:
      - .address_space:  global
        .offset:         0
        .size:           8
        .value_kind:     global_buffer
      - .address_space:  global
        .offset:         8
        .size:           8
        .value_kind:     global_buffer
      - .offset:         16
        .size:           4
        .value_kind:     by_value
      - .offset:         24
        .size:           4
        .value_kind:     hidden_block_count_x
      - .offset:         28
        .size:           4
        .value_kind:     hidden_block_count_y
      - .offset:         32
        .size:           4
        .value_kind:     hidden_block_count_z
      - .offset:         36
        .size:           2
        .value_kind:     hidden_group_size_x
      - .offset:         38
        .size:           2
        .value_kind:     hidden_group_size_y
      - .offset:         40
        .size:           2
        .value_kind:     hidden_group_size_z
      - .offset:         42
        .size:           2
        .value_kind:     hidden_remainder_x
      - .offset:         44
        .size:           2
        .value_kind:     hidden_remainder_y
      - .offset:         46
        .size:           2
        .value_kind:     hidden_remainder_z
      - .offset:         64
        .size:           8
        .value_kind:     hidden_global_offset_x
      - .offset:         72
        .size:           8
        .value_kind:     hidden_global_offset_y
      - .offset:         80
        .size:           8
        .value_kind:     hidden_global_offset_z
      - .offset:         88
        .size:           2
        .value_kind:     hidden_grid_dims
    .group_segment_fixed_size: 0
    .kernarg_segment_align: 8
    .kernarg_segment_size: 280
    .language:       OpenCL C
    .language_version:
      - 2
      - 0
    .max_flat_workgroup_size: 1024
    .name:           _ZL15unary_op_kernelIXadL_ZL11op_softplusfEE6__halfEvPKT0_PS1_i
    .private_segment_fixed_size: 0
    .sgpr_count:     11
    .sgpr_spill_count: 0
    .symbol:         _ZL15unary_op_kernelIXadL_ZL11op_softplusfEE6__halfEvPKT0_PS1_i.kd
    .uniform_work_group_size: 1
    .uses_dynamic_stack: false
    .vgpr_count:     7
    .vgpr_spill_count: 0
    .wavefront_size: 64
  - .args:
      - .address_space:  global
        .offset:         0
        .size:           8
        .value_kind:     global_buffer
      - .address_space:  global
        .offset:         8
        .size:           8
        .value_kind:     global_buffer
      - .offset:         16
        .size:           4
        .value_kind:     by_value
      - .offset:         24
        .size:           4
        .value_kind:     hidden_block_count_x
      - .offset:         28
        .size:           4
        .value_kind:     hidden_block_count_y
      - .offset:         32
        .size:           4
        .value_kind:     hidden_block_count_z
      - .offset:         36
        .size:           2
        .value_kind:     hidden_group_size_x
      - .offset:         38
        .size:           2
        .value_kind:     hidden_group_size_y
      - .offset:         40
        .size:           2
        .value_kind:     hidden_group_size_z
      - .offset:         42
        .size:           2
        .value_kind:     hidden_remainder_x
      - .offset:         44
        .size:           2
        .value_kind:     hidden_remainder_y
      - .offset:         46
        .size:           2
        .value_kind:     hidden_remainder_z
      - .offset:         64
        .size:           8
        .value_kind:     hidden_global_offset_x
      - .offset:         72
        .size:           8
        .value_kind:     hidden_global_offset_y
      - .offset:         80
        .size:           8
        .value_kind:     hidden_global_offset_z
      - .offset:         88
        .size:           2
        .value_kind:     hidden_grid_dims
    .group_segment_fixed_size: 0
    .kernarg_segment_align: 8
    .kernarg_segment_size: 280
    .language:       OpenCL C
    .language_version:
      - 2
      - 0
    .max_flat_workgroup_size: 1024
    .name:           _ZL15unary_op_kernelIXadL_ZL11op_softplusfEEfEvPKT0_PS0_i
    .private_segment_fixed_size: 0
    .sgpr_count:     12
    .sgpr_spill_count: 0
    .symbol:         _ZL15unary_op_kernelIXadL_ZL11op_softplusfEEfEvPKT0_PS0_i.kd
    .uniform_work_group_size: 1
    .uses_dynamic_stack: false
    .vgpr_count:     7
    .vgpr_spill_count: 0
    .wavefront_size: 64
  - .args:
      - .address_space:  global
        .offset:         0
        .size:           8
        .value_kind:     global_buffer
      - .address_space:  global
        .offset:         8
        .size:           8
        .value_kind:     global_buffer
      - .address_space:  global
        .offset:         16
        .size:           8
        .value_kind:     global_buffer
      - .offset:         24
        .size:           8
        .value_kind:     by_value
      - .offset:         32
        .size:           8
        .value_kind:     by_value
      - .offset:         40
        .size:           8
        .value_kind:     by_value
      - .offset:         48
        .size:           8
        .value_kind:     by_value
      - .offset:         56
        .size:           4
        .value_kind:     hidden_block_count_x
      - .offset:         60
        .size:           4
        .value_kind:     hidden_block_count_y
      - .offset:         64
        .size:           4
        .value_kind:     hidden_block_count_z
      - .offset:         68
        .size:           2
        .value_kind:     hidden_group_size_x
      - .offset:         70
        .size:           2
        .value_kind:     hidden_group_size_y
      - .offset:         72
        .size:           2
        .value_kind:     hidden_group_size_z
      - .offset:         74
        .size:           2
        .value_kind:     hidden_remainder_x
      - .offset:         76
        .size:           2
        .value_kind:     hidden_remainder_y
      - .offset:         78
        .size:           2
        .value_kind:     hidden_remainder_z
      - .offset:         96
        .size:           8
        .value_kind:     hidden_global_offset_x
      - .offset:         104
        .size:           8
        .value_kind:     hidden_global_offset_y
      - .offset:         112
        .size:           8
        .value_kind:     hidden_global_offset_z
      - .offset:         120
        .size:           2
        .value_kind:     hidden_grid_dims
    .group_segment_fixed_size: 0
    .kernarg_segment_align: 8
    .kernarg_segment_size: 312
    .language:       OpenCL C
    .language_version:
      - 2
      - 0
    .max_flat_workgroup_size: 1024
    .name:           _ZL21unary_gated_op_kernelIXadL_ZL7op_relufEE6__halfEvPKT0_S3_PS1_llll
    .private_segment_fixed_size: 0
    .sgpr_count:     31
    .sgpr_spill_count: 0
    .symbol:         _ZL21unary_gated_op_kernelIXadL_ZL7op_relufEE6__halfEvPKT0_S3_PS1_llll.kd
    .uniform_work_group_size: 1
    .uses_dynamic_stack: false
    .vgpr_count:     13
    .vgpr_spill_count: 0
    .wavefront_size: 64
  - .args:
      - .address_space:  global
        .offset:         0
        .size:           8
        .value_kind:     global_buffer
      - .address_space:  global
        .offset:         8
        .size:           8
        .value_kind:     global_buffer
      - .address_space:  global
        .offset:         16
        .size:           8
        .value_kind:     global_buffer
      - .offset:         24
        .size:           8
        .value_kind:     by_value
      - .offset:         32
        .size:           8
        .value_kind:     by_value
      - .offset:         40
        .size:           8
        .value_kind:     by_value
      - .offset:         48
        .size:           8
        .value_kind:     by_value
      - .offset:         56
        .size:           4
        .value_kind:     hidden_block_count_x
      - .offset:         60
        .size:           4
        .value_kind:     hidden_block_count_y
      - .offset:         64
        .size:           4
        .value_kind:     hidden_block_count_z
      - .offset:         68
        .size:           2
        .value_kind:     hidden_group_size_x
      - .offset:         70
        .size:           2
        .value_kind:     hidden_group_size_y
      - .offset:         72
        .size:           2
        .value_kind:     hidden_group_size_z
      - .offset:         74
        .size:           2
        .value_kind:     hidden_remainder_x
      - .offset:         76
        .size:           2
        .value_kind:     hidden_remainder_y
      - .offset:         78
        .size:           2
        .value_kind:     hidden_remainder_z
      - .offset:         96
        .size:           8
        .value_kind:     hidden_global_offset_x
      - .offset:         104
        .size:           8
        .value_kind:     hidden_global_offset_y
      - .offset:         112
        .size:           8
        .value_kind:     hidden_global_offset_z
      - .offset:         120
        .size:           2
        .value_kind:     hidden_grid_dims
    .group_segment_fixed_size: 0
    .kernarg_segment_align: 8
    .kernarg_segment_size: 312
    .language:       OpenCL C
    .language_version:
      - 2
      - 0
    .max_flat_workgroup_size: 1024
    .name:           _ZL21unary_gated_op_kernelIXadL_ZL7op_relufEEfEvPKT0_S2_PS0_llll
    .private_segment_fixed_size: 0
    .sgpr_count:     31
    .sgpr_spill_count: 0
    .symbol:         _ZL21unary_gated_op_kernelIXadL_ZL7op_relufEEfEvPKT0_S2_PS0_llll.kd
    .uniform_work_group_size: 1
    .uses_dynamic_stack: false
    .vgpr_count:     13
    .vgpr_spill_count: 0
    .wavefront_size: 64
  - .args:
      - .address_space:  global
        .offset:         0
        .size:           8
        .value_kind:     global_buffer
      - .address_space:  global
        .offset:         8
        .size:           8
        .value_kind:     global_buffer
      - .address_space:  global
        .offset:         16
        .size:           8
        .value_kind:     global_buffer
      - .offset:         24
        .size:           8
        .value_kind:     by_value
      - .offset:         32
        .size:           8
        .value_kind:     by_value
      - .offset:         40
        .size:           8
        .value_kind:     by_value
      - .offset:         48
        .size:           8
        .value_kind:     by_value
      - .offset:         56
        .size:           4
        .value_kind:     hidden_block_count_x
      - .offset:         60
        .size:           4
        .value_kind:     hidden_block_count_y
      - .offset:         64
        .size:           4
        .value_kind:     hidden_block_count_z
      - .offset:         68
        .size:           2
        .value_kind:     hidden_group_size_x
      - .offset:         70
        .size:           2
        .value_kind:     hidden_group_size_y
      - .offset:         72
        .size:           2
        .value_kind:     hidden_group_size_z
      - .offset:         74
        .size:           2
        .value_kind:     hidden_remainder_x
      - .offset:         76
        .size:           2
        .value_kind:     hidden_remainder_y
      - .offset:         78
        .size:           2
        .value_kind:     hidden_remainder_z
      - .offset:         96
        .size:           8
        .value_kind:     hidden_global_offset_x
      - .offset:         104
        .size:           8
        .value_kind:     hidden_global_offset_y
      - .offset:         112
        .size:           8
        .value_kind:     hidden_global_offset_z
      - .offset:         120
        .size:           2
        .value_kind:     hidden_grid_dims
    .group_segment_fixed_size: 0
    .kernarg_segment_align: 8
    .kernarg_segment_size: 312
    .language:       OpenCL C
    .language_version:
      - 2
      - 0
    .max_flat_workgroup_size: 1024
    .name:           _ZL21unary_gated_op_kernelIXadL_ZL7op_gelufEE6__halfEvPKT0_S3_PS1_llll
    .private_segment_fixed_size: 0
    .sgpr_count:     31
    .sgpr_spill_count: 0
    .symbol:         _ZL21unary_gated_op_kernelIXadL_ZL7op_gelufEE6__halfEvPKT0_S3_PS1_llll.kd
    .uniform_work_group_size: 1
    .uses_dynamic_stack: false
    .vgpr_count:     13
    .vgpr_spill_count: 0
    .wavefront_size: 64
  - .args:
      - .address_space:  global
        .offset:         0
        .size:           8
        .value_kind:     global_buffer
      - .address_space:  global
        .offset:         8
        .size:           8
        .value_kind:     global_buffer
      - .address_space:  global
        .offset:         16
        .size:           8
        .value_kind:     global_buffer
      - .offset:         24
        .size:           8
        .value_kind:     by_value
      - .offset:         32
        .size:           8
        .value_kind:     by_value
      - .offset:         40
        .size:           8
        .value_kind:     by_value
      - .offset:         48
        .size:           8
        .value_kind:     by_value
      - .offset:         56
        .size:           4
        .value_kind:     hidden_block_count_x
      - .offset:         60
        .size:           4
        .value_kind:     hidden_block_count_y
      - .offset:         64
        .size:           4
        .value_kind:     hidden_block_count_z
      - .offset:         68
        .size:           2
        .value_kind:     hidden_group_size_x
      - .offset:         70
        .size:           2
        .value_kind:     hidden_group_size_y
      - .offset:         72
        .size:           2
        .value_kind:     hidden_group_size_z
      - .offset:         74
        .size:           2
        .value_kind:     hidden_remainder_x
      - .offset:         76
        .size:           2
        .value_kind:     hidden_remainder_y
      - .offset:         78
        .size:           2
        .value_kind:     hidden_remainder_z
      - .offset:         96
        .size:           8
        .value_kind:     hidden_global_offset_x
      - .offset:         104
        .size:           8
        .value_kind:     hidden_global_offset_y
      - .offset:         112
        .size:           8
        .value_kind:     hidden_global_offset_z
      - .offset:         120
        .size:           2
        .value_kind:     hidden_grid_dims
    .group_segment_fixed_size: 0
    .kernarg_segment_align: 8
    .kernarg_segment_size: 312
    .language:       OpenCL C
    .language_version:
      - 2
      - 0
    .max_flat_workgroup_size: 1024
    .name:           _ZL21unary_gated_op_kernelIXadL_ZL7op_gelufEEfEvPKT0_S2_PS0_llll
    .private_segment_fixed_size: 0
    .sgpr_count:     31
    .sgpr_spill_count: 0
    .symbol:         _ZL21unary_gated_op_kernelIXadL_ZL7op_gelufEEfEvPKT0_S2_PS0_llll.kd
    .uniform_work_group_size: 1
    .uses_dynamic_stack: false
    .vgpr_count:     13
    .vgpr_spill_count: 0
    .wavefront_size: 64
  - .args:
      - .address_space:  global
        .offset:         0
        .size:           8
        .value_kind:     global_buffer
      - .address_space:  global
        .offset:         8
        .size:           8
        .value_kind:     global_buffer
      - .address_space:  global
        .offset:         16
        .size:           8
        .value_kind:     global_buffer
      - .offset:         24
        .size:           8
        .value_kind:     by_value
      - .offset:         32
        .size:           8
        .value_kind:     by_value
      - .offset:         40
        .size:           8
        .value_kind:     by_value
      - .offset:         48
        .size:           8
        .value_kind:     by_value
      - .offset:         56
        .size:           4
        .value_kind:     hidden_block_count_x
      - .offset:         60
        .size:           4
        .value_kind:     hidden_block_count_y
      - .offset:         64
        .size:           4
        .value_kind:     hidden_block_count_z
      - .offset:         68
        .size:           2
        .value_kind:     hidden_group_size_x
      - .offset:         70
        .size:           2
        .value_kind:     hidden_group_size_y
      - .offset:         72
        .size:           2
        .value_kind:     hidden_group_size_z
      - .offset:         74
        .size:           2
        .value_kind:     hidden_remainder_x
      - .offset:         76
        .size:           2
        .value_kind:     hidden_remainder_y
      - .offset:         78
        .size:           2
        .value_kind:     hidden_remainder_z
      - .offset:         96
        .size:           8
        .value_kind:     hidden_global_offset_x
      - .offset:         104
        .size:           8
        .value_kind:     hidden_global_offset_y
      - .offset:         112
        .size:           8
        .value_kind:     hidden_global_offset_z
      - .offset:         120
        .size:           2
        .value_kind:     hidden_grid_dims
    .group_segment_fixed_size: 0
    .kernarg_segment_align: 8
    .kernarg_segment_size: 312
    .language:       OpenCL C
    .language_version:
      - 2
      - 0
    .max_flat_workgroup_size: 1024
    .name:           _ZL21unary_gated_op_kernelIXadL_ZL7op_silufEE6__halfEvPKT0_S3_PS1_llll
    .private_segment_fixed_size: 0
    .sgpr_count:     31
    .sgpr_spill_count: 0
    .symbol:         _ZL21unary_gated_op_kernelIXadL_ZL7op_silufEE6__halfEvPKT0_S3_PS1_llll.kd
    .uniform_work_group_size: 1
    .uses_dynamic_stack: false
    .vgpr_count:     13
    .vgpr_spill_count: 0
    .wavefront_size: 64
  - .args:
      - .address_space:  global
        .offset:         0
        .size:           8
        .value_kind:     global_buffer
      - .address_space:  global
        .offset:         8
        .size:           8
        .value_kind:     global_buffer
      - .address_space:  global
        .offset:         16
        .size:           8
        .value_kind:     global_buffer
      - .offset:         24
        .size:           8
        .value_kind:     by_value
      - .offset:         32
        .size:           8
        .value_kind:     by_value
      - .offset:         40
        .size:           8
        .value_kind:     by_value
      - .offset:         48
        .size:           8
        .value_kind:     by_value
      - .offset:         56
        .size:           4
        .value_kind:     hidden_block_count_x
      - .offset:         60
        .size:           4
        .value_kind:     hidden_block_count_y
      - .offset:         64
        .size:           4
        .value_kind:     hidden_block_count_z
      - .offset:         68
        .size:           2
        .value_kind:     hidden_group_size_x
      - .offset:         70
        .size:           2
        .value_kind:     hidden_group_size_y
      - .offset:         72
        .size:           2
        .value_kind:     hidden_group_size_z
      - .offset:         74
        .size:           2
        .value_kind:     hidden_remainder_x
      - .offset:         76
        .size:           2
        .value_kind:     hidden_remainder_y
      - .offset:         78
        .size:           2
        .value_kind:     hidden_remainder_z
      - .offset:         96
        .size:           8
        .value_kind:     hidden_global_offset_x
      - .offset:         104
        .size:           8
        .value_kind:     hidden_global_offset_y
      - .offset:         112
        .size:           8
        .value_kind:     hidden_global_offset_z
      - .offset:         120
        .size:           2
        .value_kind:     hidden_grid_dims
    .group_segment_fixed_size: 0
    .kernarg_segment_align: 8
    .kernarg_segment_size: 312
    .language:       OpenCL C
    .language_version:
      - 2
      - 0
    .max_flat_workgroup_size: 1024
    .name:           _ZL21unary_gated_op_kernelIXadL_ZL7op_silufEEfEvPKT0_S2_PS0_llll
    .private_segment_fixed_size: 0
    .sgpr_count:     31
    .sgpr_spill_count: 0
    .symbol:         _ZL21unary_gated_op_kernelIXadL_ZL7op_silufEEfEvPKT0_S2_PS0_llll.kd
    .uniform_work_group_size: 1
    .uses_dynamic_stack: false
    .vgpr_count:     13
    .vgpr_spill_count: 0
    .wavefront_size: 64
  - .args:
      - .address_space:  global
        .offset:         0
        .size:           8
        .value_kind:     global_buffer
      - .address_space:  global
        .offset:         8
        .size:           8
        .value_kind:     global_buffer
      - .address_space:  global
        .offset:         16
        .size:           8
        .value_kind:     global_buffer
      - .offset:         24
        .size:           8
        .value_kind:     by_value
      - .offset:         32
        .size:           8
        .value_kind:     by_value
      - .offset:         40
        .size:           8
        .value_kind:     by_value
      - .offset:         48
        .size:           8
        .value_kind:     by_value
      - .offset:         56
        .size:           4
        .value_kind:     hidden_block_count_x
      - .offset:         60
        .size:           4
        .value_kind:     hidden_block_count_y
      - .offset:         64
        .size:           4
        .value_kind:     hidden_block_count_z
      - .offset:         68
        .size:           2
        .value_kind:     hidden_group_size_x
      - .offset:         70
        .size:           2
        .value_kind:     hidden_group_size_y
      - .offset:         72
        .size:           2
        .value_kind:     hidden_group_size_z
      - .offset:         74
        .size:           2
        .value_kind:     hidden_remainder_x
      - .offset:         76
        .size:           2
        .value_kind:     hidden_remainder_y
      - .offset:         78
        .size:           2
        .value_kind:     hidden_remainder_z
      - .offset:         96
        .size:           8
        .value_kind:     hidden_global_offset_x
      - .offset:         104
        .size:           8
        .value_kind:     hidden_global_offset_y
      - .offset:         112
        .size:           8
        .value_kind:     hidden_global_offset_z
      - .offset:         120
        .size:           2
        .value_kind:     hidden_grid_dims
    .group_segment_fixed_size: 0
    .kernarg_segment_align: 8
    .kernarg_segment_size: 312
    .language:       OpenCL C
    .language_version:
      - 2
      - 0
    .max_flat_workgroup_size: 1024
    .name:           _ZL21unary_gated_op_kernelIXadL_ZL11op_gelu_erffEE6__halfEvPKT0_S3_PS1_llll
    .private_segment_fixed_size: 0
    .sgpr_count:     31
    .sgpr_spill_count: 0
    .symbol:         _ZL21unary_gated_op_kernelIXadL_ZL11op_gelu_erffEE6__halfEvPKT0_S3_PS1_llll.kd
    .uniform_work_group_size: 1
    .uses_dynamic_stack: false
    .vgpr_count:     13
    .vgpr_spill_count: 0
    .wavefront_size: 64
  - .args:
      - .address_space:  global
        .offset:         0
        .size:           8
        .value_kind:     global_buffer
      - .address_space:  global
        .offset:         8
        .size:           8
        .value_kind:     global_buffer
      - .address_space:  global
        .offset:         16
        .size:           8
        .value_kind:     global_buffer
      - .offset:         24
        .size:           8
        .value_kind:     by_value
      - .offset:         32
        .size:           8
        .value_kind:     by_value
      - .offset:         40
        .size:           8
        .value_kind:     by_value
      - .offset:         48
        .size:           8
        .value_kind:     by_value
      - .offset:         56
        .size:           4
        .value_kind:     hidden_block_count_x
      - .offset:         60
        .size:           4
        .value_kind:     hidden_block_count_y
      - .offset:         64
        .size:           4
        .value_kind:     hidden_block_count_z
      - .offset:         68
        .size:           2
        .value_kind:     hidden_group_size_x
      - .offset:         70
        .size:           2
        .value_kind:     hidden_group_size_y
      - .offset:         72
        .size:           2
        .value_kind:     hidden_group_size_z
      - .offset:         74
        .size:           2
        .value_kind:     hidden_remainder_x
      - .offset:         76
        .size:           2
        .value_kind:     hidden_remainder_y
      - .offset:         78
        .size:           2
        .value_kind:     hidden_remainder_z
      - .offset:         96
        .size:           8
        .value_kind:     hidden_global_offset_x
      - .offset:         104
        .size:           8
        .value_kind:     hidden_global_offset_y
      - .offset:         112
        .size:           8
        .value_kind:     hidden_global_offset_z
      - .offset:         120
        .size:           2
        .value_kind:     hidden_grid_dims
    .group_segment_fixed_size: 0
    .kernarg_segment_align: 8
    .kernarg_segment_size: 312
    .language:       OpenCL C
    .language_version:
      - 2
      - 0
    .max_flat_workgroup_size: 1024
    .name:           _ZL21unary_gated_op_kernelIXadL_ZL11op_gelu_erffEEfEvPKT0_S2_PS0_llll
    .private_segment_fixed_size: 0
    .sgpr_count:     31
    .sgpr_spill_count: 0
    .symbol:         _ZL21unary_gated_op_kernelIXadL_ZL11op_gelu_erffEEfEvPKT0_S2_PS0_llll.kd
    .uniform_work_group_size: 1
    .uses_dynamic_stack: false
    .vgpr_count:     13
    .vgpr_spill_count: 0
    .wavefront_size: 64
  - .args:
      - .address_space:  global
        .offset:         0
        .size:           8
        .value_kind:     global_buffer
      - .address_space:  global
        .offset:         8
        .size:           8
        .value_kind:     global_buffer
      - .address_space:  global
        .offset:         16
        .size:           8
        .value_kind:     global_buffer
      - .offset:         24
        .size:           8
        .value_kind:     by_value
      - .offset:         32
        .size:           8
        .value_kind:     by_value
      - .offset:         40
        .size:           8
        .value_kind:     by_value
      - .offset:         48
        .size:           8
        .value_kind:     by_value
      - .offset:         56
        .size:           4
        .value_kind:     hidden_block_count_x
      - .offset:         60
        .size:           4
        .value_kind:     hidden_block_count_y
      - .offset:         64
        .size:           4
        .value_kind:     hidden_block_count_z
      - .offset:         68
        .size:           2
        .value_kind:     hidden_group_size_x
      - .offset:         70
        .size:           2
        .value_kind:     hidden_group_size_y
      - .offset:         72
        .size:           2
        .value_kind:     hidden_group_size_z
      - .offset:         74
        .size:           2
        .value_kind:     hidden_remainder_x
      - .offset:         76
        .size:           2
        .value_kind:     hidden_remainder_y
      - .offset:         78
        .size:           2
        .value_kind:     hidden_remainder_z
      - .offset:         96
        .size:           8
        .value_kind:     hidden_global_offset_x
      - .offset:         104
        .size:           8
        .value_kind:     hidden_global_offset_y
      - .offset:         112
        .size:           8
        .value_kind:     hidden_global_offset_z
      - .offset:         120
        .size:           2
        .value_kind:     hidden_grid_dims
    .group_segment_fixed_size: 0
    .kernarg_segment_align: 8
    .kernarg_segment_size: 312
    .language:       OpenCL C
    .language_version:
      - 2
      - 0
    .max_flat_workgroup_size: 1024
    .name:           _ZL21unary_gated_op_kernelIXadL_ZL13op_gelu_quickfEE6__halfEvPKT0_S3_PS1_llll
    .private_segment_fixed_size: 0
    .sgpr_count:     31
    .sgpr_spill_count: 0
    .symbol:         _ZL21unary_gated_op_kernelIXadL_ZL13op_gelu_quickfEE6__halfEvPKT0_S3_PS1_llll.kd
    .uniform_work_group_size: 1
    .uses_dynamic_stack: false
    .vgpr_count:     13
    .vgpr_spill_count: 0
    .wavefront_size: 64
  - .args:
      - .address_space:  global
        .offset:         0
        .size:           8
        .value_kind:     global_buffer
      - .address_space:  global
        .offset:         8
        .size:           8
        .value_kind:     global_buffer
      - .address_space:  global
        .offset:         16
        .size:           8
        .value_kind:     global_buffer
      - .offset:         24
        .size:           8
        .value_kind:     by_value
      - .offset:         32
        .size:           8
        .value_kind:     by_value
      - .offset:         40
        .size:           8
        .value_kind:     by_value
      - .offset:         48
        .size:           8
        .value_kind:     by_value
      - .offset:         56
        .size:           4
        .value_kind:     hidden_block_count_x
      - .offset:         60
        .size:           4
        .value_kind:     hidden_block_count_y
      - .offset:         64
        .size:           4
        .value_kind:     hidden_block_count_z
      - .offset:         68
        .size:           2
        .value_kind:     hidden_group_size_x
      - .offset:         70
        .size:           2
        .value_kind:     hidden_group_size_y
      - .offset:         72
        .size:           2
        .value_kind:     hidden_group_size_z
      - .offset:         74
        .size:           2
        .value_kind:     hidden_remainder_x
      - .offset:         76
        .size:           2
        .value_kind:     hidden_remainder_y
      - .offset:         78
        .size:           2
        .value_kind:     hidden_remainder_z
      - .offset:         96
        .size:           8
        .value_kind:     hidden_global_offset_x
      - .offset:         104
        .size:           8
        .value_kind:     hidden_global_offset_y
      - .offset:         112
        .size:           8
        .value_kind:     hidden_global_offset_z
      - .offset:         120
        .size:           2
        .value_kind:     hidden_grid_dims
    .group_segment_fixed_size: 0
    .kernarg_segment_align: 8
    .kernarg_segment_size: 312
    .language:       OpenCL C
    .language_version:
      - 2
      - 0
    .max_flat_workgroup_size: 1024
    .name:           _ZL21unary_gated_op_kernelIXadL_ZL13op_gelu_quickfEEfEvPKT0_S2_PS0_llll
    .private_segment_fixed_size: 0
    .sgpr_count:     31
    .sgpr_spill_count: 0
    .symbol:         _ZL21unary_gated_op_kernelIXadL_ZL13op_gelu_quickfEEfEvPKT0_S2_PS0_llll.kd
    .uniform_work_group_size: 1
    .uses_dynamic_stack: false
    .vgpr_count:     13
    .vgpr_spill_count: 0
    .wavefront_size: 64
  - .args:
      - .address_space:  global
        .offset:         0
        .size:           8
        .value_kind:     global_buffer
      - .address_space:  global
        .offset:         8
        .size:           8
        .value_kind:     global_buffer
      - .address_space:  global
        .offset:         16
        .size:           8
        .value_kind:     global_buffer
      - .offset:         24
        .size:           8
        .value_kind:     by_value
      - .offset:         32
        .size:           8
        .value_kind:     by_value
      - .offset:         40
        .size:           8
        .value_kind:     by_value
      - .offset:         48
        .size:           8
        .value_kind:     by_value
      - .offset:         56
        .size:           4
        .value_kind:     by_value
      - .offset:         60
        .size:           4
        .value_kind:     by_value
      - .offset:         64
        .size:           4
        .value_kind:     hidden_block_count_x
      - .offset:         68
        .size:           4
        .value_kind:     hidden_block_count_y
      - .offset:         72
        .size:           4
        .value_kind:     hidden_block_count_z
      - .offset:         76
        .size:           2
        .value_kind:     hidden_group_size_x
      - .offset:         78
        .size:           2
        .value_kind:     hidden_group_size_y
      - .offset:         80
        .size:           2
        .value_kind:     hidden_group_size_z
      - .offset:         82
        .size:           2
        .value_kind:     hidden_remainder_x
      - .offset:         84
        .size:           2
        .value_kind:     hidden_remainder_y
      - .offset:         86
        .size:           2
        .value_kind:     hidden_remainder_z
      - .offset:         104
        .size:           8
        .value_kind:     hidden_global_offset_x
      - .offset:         112
        .size:           8
        .value_kind:     hidden_global_offset_y
      - .offset:         120
        .size:           8
        .value_kind:     hidden_global_offset_z
      - .offset:         128
        .size:           2
        .value_kind:     hidden_grid_dims
    .group_segment_fixed_size: 0
    .kernarg_segment_align: 8
    .kernarg_segment_size: 320
    .language:       OpenCL C
    .language_version:
      - 2
      - 0
    .max_flat_workgroup_size: 1024
    .name:           _ZL17swiglu_oai_kernelIfEvPKT_S2_PS0_llllff
    .private_segment_fixed_size: 0
    .sgpr_count:     33
    .sgpr_spill_count: 0
    .symbol:         _ZL17swiglu_oai_kernelIfEvPKT_S2_PS0_llllff.kd
    .uniform_work_group_size: 1
    .uses_dynamic_stack: false
    .vgpr_count:     13
    .vgpr_spill_count: 0
    .wavefront_size: 64
  - .args:
      - .address_space:  global
        .offset:         0
        .size:           8
        .value_kind:     global_buffer
      - .address_space:  global
        .offset:         8
        .size:           8
        .value_kind:     global_buffer
      - .offset:         16
        .size:           4
        .value_kind:     by_value
      - .offset:         20
        .size:           4
        .value_kind:     by_value
      - .offset:         24
        .size:           4
        .value_kind:     by_value
      - .offset:         28
        .size:           4
        .value_kind:     by_value
      - .offset:         32
        .size:           4
        .value_kind:     by_value
      - .offset:         40
        .size:           4
        .value_kind:     hidden_block_count_x
      - .offset:         44
        .size:           4
        .value_kind:     hidden_block_count_y
      - .offset:         48
        .size:           4
        .value_kind:     hidden_block_count_z
      - .offset:         52
        .size:           2
        .value_kind:     hidden_group_size_x
      - .offset:         54
        .size:           2
        .value_kind:     hidden_group_size_y
      - .offset:         56
        .size:           2
        .value_kind:     hidden_group_size_z
      - .offset:         58
        .size:           2
        .value_kind:     hidden_remainder_x
      - .offset:         60
        .size:           2
        .value_kind:     hidden_remainder_y
      - .offset:         62
        .size:           2
        .value_kind:     hidden_remainder_z
      - .offset:         80
        .size:           8
        .value_kind:     hidden_global_offset_x
      - .offset:         88
        .size:           8
        .value_kind:     hidden_global_offset_y
      - .offset:         96
        .size:           8
        .value_kind:     hidden_global_offset_z
      - .offset:         104
        .size:           2
        .value_kind:     hidden_grid_dims
    .group_segment_fixed_size: 0
    .kernarg_segment_align: 8
    .kernarg_segment_size: 296
    .language:       OpenCL C
    .language_version:
      - 2
      - 0
    .max_flat_workgroup_size: 1024
    .name:           _ZL12xielu_kernelI6__halfEvPKT_PS1_iffff
    .private_segment_fixed_size: 0
    .sgpr_count:     16
    .sgpr_spill_count: 0
    .symbol:         _ZL12xielu_kernelI6__halfEvPKT_PS1_iffff.kd
    .uniform_work_group_size: 1
    .uses_dynamic_stack: false
    .vgpr_count:     18
    .vgpr_spill_count: 0
    .wavefront_size: 64
  - .args:
      - .address_space:  global
        .offset:         0
        .size:           8
        .value_kind:     global_buffer
      - .address_space:  global
        .offset:         8
        .size:           8
        .value_kind:     global_buffer
      - .offset:         16
        .size:           4
        .value_kind:     by_value
      - .offset:         20
        .size:           4
        .value_kind:     by_value
      - .offset:         24
        .size:           4
        .value_kind:     by_value
      - .offset:         28
        .size:           4
        .value_kind:     by_value
      - .offset:         32
        .size:           4
        .value_kind:     by_value
      - .offset:         40
        .size:           4
        .value_kind:     hidden_block_count_x
      - .offset:         44
        .size:           4
        .value_kind:     hidden_block_count_y
      - .offset:         48
        .size:           4
        .value_kind:     hidden_block_count_z
      - .offset:         52
        .size:           2
        .value_kind:     hidden_group_size_x
      - .offset:         54
        .size:           2
        .value_kind:     hidden_group_size_y
      - .offset:         56
        .size:           2
        .value_kind:     hidden_group_size_z
      - .offset:         58
        .size:           2
        .value_kind:     hidden_remainder_x
      - .offset:         60
        .size:           2
        .value_kind:     hidden_remainder_y
      - .offset:         62
        .size:           2
        .value_kind:     hidden_remainder_z
      - .offset:         80
        .size:           8
        .value_kind:     hidden_global_offset_x
      - .offset:         88
        .size:           8
        .value_kind:     hidden_global_offset_y
      - .offset:         96
        .size:           8
        .value_kind:     hidden_global_offset_z
      - .offset:         104
        .size:           2
        .value_kind:     hidden_grid_dims
    .group_segment_fixed_size: 0
    .kernarg_segment_align: 8
    .kernarg_segment_size: 296
    .language:       OpenCL C
    .language_version:
      - 2
      - 0
    .max_flat_workgroup_size: 1024
    .name:           _ZL12xielu_kernelIfEvPKT_PS0_iffff
    .private_segment_fixed_size: 0
    .sgpr_count:     16
    .sgpr_spill_count: 0
    .symbol:         _ZL12xielu_kernelIfEvPKT_PS0_iffff.kd
    .uniform_work_group_size: 1
    .uses_dynamic_stack: false
    .vgpr_count:     18
    .vgpr_spill_count: 0
    .wavefront_size: 64
  - .args:
      - .address_space:  global
        .offset:         0
        .size:           8
        .value_kind:     global_buffer
      - .address_space:  global
        .offset:         8
        .size:           8
        .value_kind:     global_buffer
      - .address_space:  global
        .offset:         16
        .size:           8
        .value_kind:     global_buffer
      - .offset:         24
        .size:           4
        .value_kind:     by_value
      - .offset:         32
        .size:           4
        .value_kind:     hidden_block_count_x
      - .offset:         36
        .size:           4
        .value_kind:     hidden_block_count_y
      - .offset:         40
        .size:           4
        .value_kind:     hidden_block_count_z
      - .offset:         44
        .size:           2
        .value_kind:     hidden_group_size_x
      - .offset:         46
        .size:           2
        .value_kind:     hidden_group_size_y
      - .offset:         48
        .size:           2
        .value_kind:     hidden_group_size_z
      - .offset:         50
        .size:           2
        .value_kind:     hidden_remainder_x
      - .offset:         52
        .size:           2
        .value_kind:     hidden_remainder_y
      - .offset:         54
        .size:           2
        .value_kind:     hidden_remainder_z
      - .offset:         72
        .size:           8
        .value_kind:     hidden_global_offset_x
      - .offset:         80
        .size:           8
        .value_kind:     hidden_global_offset_y
      - .offset:         88
        .size:           8
        .value_kind:     hidden_global_offset_z
      - .offset:         96
        .size:           2
        .value_kind:     hidden_grid_dims
    .group_segment_fixed_size: 0
    .kernarg_segment_align: 8
    .kernarg_segment_size: 288
    .language:       OpenCL C
    .language_version:
      - 2
      - 0
    .max_flat_workgroup_size: 1024
    .name:           _ZL16silu_back_kernelI6__halfEvPKT_S3_PS1_i
    .private_segment_fixed_size: 0
    .sgpr_count:     12
    .sgpr_spill_count: 0
    .symbol:         _ZL16silu_back_kernelI6__halfEvPKT_S3_PS1_i.kd
    .uniform_work_group_size: 1
    .uses_dynamic_stack: false
    .vgpr_count:     10
    .vgpr_spill_count: 0
    .wavefront_size: 64
  - .args:
      - .address_space:  global
        .offset:         0
        .size:           8
        .value_kind:     global_buffer
      - .address_space:  global
        .offset:         8
        .size:           8
        .value_kind:     global_buffer
      - .address_space:  global
        .offset:         16
        .size:           8
        .value_kind:     global_buffer
      - .offset:         24
        .size:           4
        .value_kind:     by_value
      - .offset:         32
        .size:           4
        .value_kind:     hidden_block_count_x
      - .offset:         36
        .size:           4
        .value_kind:     hidden_block_count_y
      - .offset:         40
        .size:           4
        .value_kind:     hidden_block_count_z
      - .offset:         44
        .size:           2
        .value_kind:     hidden_group_size_x
      - .offset:         46
        .size:           2
        .value_kind:     hidden_group_size_y
      - .offset:         48
        .size:           2
        .value_kind:     hidden_group_size_z
      - .offset:         50
        .size:           2
        .value_kind:     hidden_remainder_x
      - .offset:         52
        .size:           2
        .value_kind:     hidden_remainder_y
      - .offset:         54
        .size:           2
        .value_kind:     hidden_remainder_z
      - .offset:         72
        .size:           8
        .value_kind:     hidden_global_offset_x
      - .offset:         80
        .size:           8
        .value_kind:     hidden_global_offset_y
      - .offset:         88
        .size:           8
        .value_kind:     hidden_global_offset_z
      - .offset:         96
        .size:           2
        .value_kind:     hidden_grid_dims
    .group_segment_fixed_size: 0
    .kernarg_segment_align: 8
    .kernarg_segment_size: 288
    .language:       OpenCL C
    .language_version:
      - 2
      - 0
    .max_flat_workgroup_size: 1024
    .name:           _ZL16silu_back_kernelIfEvPKT_S2_PS0_i
    .private_segment_fixed_size: 0
    .sgpr_count:     12
    .sgpr_spill_count: 0
    .symbol:         _ZL16silu_back_kernelIfEvPKT_S2_PS0_i.kd
    .uniform_work_group_size: 1
    .uses_dynamic_stack: false
    .vgpr_count:     10
    .vgpr_spill_count: 0
    .wavefront_size: 64
  - .args:
      - .address_space:  global
        .offset:         0
        .size:           8
        .value_kind:     global_buffer
      - .address_space:  global
        .offset:         8
        .size:           8
        .value_kind:     global_buffer
      - .offset:         16
        .size:           4
        .value_kind:     by_value
      - .offset:         20
        .size:           4
        .value_kind:     by_value
      - .offset:         24
        .size:           4
        .value_kind:     hidden_block_count_x
      - .offset:         28
        .size:           4
        .value_kind:     hidden_block_count_y
      - .offset:         32
        .size:           4
        .value_kind:     hidden_block_count_z
      - .offset:         36
        .size:           2
        .value_kind:     hidden_group_size_x
      - .offset:         38
        .size:           2
        .value_kind:     hidden_group_size_y
      - .offset:         40
        .size:           2
        .value_kind:     hidden_group_size_z
      - .offset:         42
        .size:           2
        .value_kind:     hidden_remainder_x
      - .offset:         44
        .size:           2
        .value_kind:     hidden_remainder_y
      - .offset:         46
        .size:           2
        .value_kind:     hidden_remainder_z
      - .offset:         64
        .size:           8
        .value_kind:     hidden_global_offset_x
      - .offset:         72
        .size:           8
        .value_kind:     hidden_global_offset_y
      - .offset:         80
        .size:           8
        .value_kind:     hidden_global_offset_z
      - .offset:         88
        .size:           2
        .value_kind:     hidden_grid_dims
    .group_segment_fixed_size: 0
    .kernarg_segment_align: 8
    .kernarg_segment_size: 280
    .language:       OpenCL C
    .language_version:
      - 2
      - 0
    .max_flat_workgroup_size: 1024
    .name:           _ZL17leaky_relu_kernelI6__halfEvPKT_PS1_if
    .private_segment_fixed_size: 0
    .sgpr_count:     12
    .sgpr_spill_count: 0
    .symbol:         _ZL17leaky_relu_kernelI6__halfEvPKT_PS1_if.kd
    .uniform_work_group_size: 1
    .uses_dynamic_stack: false
    .vgpr_count:     5
    .vgpr_spill_count: 0
    .wavefront_size: 64
  - .args:
      - .address_space:  global
        .offset:         0
        .size:           8
        .value_kind:     global_buffer
      - .address_space:  global
        .offset:         8
        .size:           8
        .value_kind:     global_buffer
      - .offset:         16
        .size:           4
        .value_kind:     by_value
      - .offset:         20
        .size:           4
        .value_kind:     by_value
      - .offset:         24
        .size:           4
        .value_kind:     hidden_block_count_x
      - .offset:         28
        .size:           4
        .value_kind:     hidden_block_count_y
      - .offset:         32
        .size:           4
        .value_kind:     hidden_block_count_z
      - .offset:         36
        .size:           2
        .value_kind:     hidden_group_size_x
      - .offset:         38
        .size:           2
        .value_kind:     hidden_group_size_y
      - .offset:         40
        .size:           2
        .value_kind:     hidden_group_size_z
      - .offset:         42
        .size:           2
        .value_kind:     hidden_remainder_x
      - .offset:         44
        .size:           2
        .value_kind:     hidden_remainder_y
      - .offset:         46
        .size:           2
        .value_kind:     hidden_remainder_z
      - .offset:         64
        .size:           8
        .value_kind:     hidden_global_offset_x
      - .offset:         72
        .size:           8
        .value_kind:     hidden_global_offset_y
      - .offset:         80
        .size:           8
        .value_kind:     hidden_global_offset_z
      - .offset:         88
        .size:           2
        .value_kind:     hidden_grid_dims
    .group_segment_fixed_size: 0
    .kernarg_segment_align: 8
    .kernarg_segment_size: 280
    .language:       OpenCL C
    .language_version:
      - 2
      - 0
    .max_flat_workgroup_size: 1024
    .name:           _ZL17leaky_relu_kernelIfEvPKT_PS0_if
    .private_segment_fixed_size: 0
    .sgpr_count:     12
    .sgpr_spill_count: 0
    .symbol:         _ZL17leaky_relu_kernelIfEvPKT_PS0_if.kd
    .uniform_work_group_size: 1
    .uses_dynamic_stack: false
    .vgpr_count:     5
    .vgpr_spill_count: 0
    .wavefront_size: 64
  - .args:
      - .address_space:  global
        .offset:         0
        .size:           8
        .value_kind:     global_buffer
      - .address_space:  global
        .offset:         8
        .size:           8
        .value_kind:     global_buffer
      - .address_space:  global
        .offset:         16
        .size:           8
        .value_kind:     global_buffer
      - .offset:         24
        .size:           8
        .value_kind:     by_value
      - .offset:         32
        .size:           8
        .value_kind:     by_value
      - .offset:         40
        .size:           8
        .value_kind:     by_value
      - .offset:         48
        .size:           8
        .value_kind:     by_value
      - .offset:         56
        .size:           4
        .value_kind:     hidden_block_count_x
      - .offset:         60
        .size:           4
        .value_kind:     hidden_block_count_y
      - .offset:         64
        .size:           4
        .value_kind:     hidden_block_count_z
      - .offset:         68
        .size:           2
        .value_kind:     hidden_group_size_x
      - .offset:         70
        .size:           2
        .value_kind:     hidden_group_size_y
      - .offset:         72
        .size:           2
        .value_kind:     hidden_group_size_z
      - .offset:         74
        .size:           2
        .value_kind:     hidden_remainder_x
      - .offset:         76
        .size:           2
        .value_kind:     hidden_remainder_y
      - .offset:         78
        .size:           2
        .value_kind:     hidden_remainder_z
      - .offset:         96
        .size:           8
        .value_kind:     hidden_global_offset_x
      - .offset:         104
        .size:           8
        .value_kind:     hidden_global_offset_y
      - .offset:         112
        .size:           8
        .value_kind:     hidden_global_offset_z
      - .offset:         120
        .size:           2
        .value_kind:     hidden_grid_dims
    .group_segment_fixed_size: 0
    .kernarg_segment_align: 8
    .kernarg_segment_size: 312
    .language:       OpenCL C
    .language_version:
      - 2
      - 0
    .max_flat_workgroup_size: 1024
    .name:           _ZL21unary_gated_op_kernelIXadL_ZL10op_sigmoidfEE6__halfEvPKT0_S3_PS1_llll
    .private_segment_fixed_size: 0
    .sgpr_count:     31
    .sgpr_spill_count: 0
    .symbol:         _ZL21unary_gated_op_kernelIXadL_ZL10op_sigmoidfEE6__halfEvPKT0_S3_PS1_llll.kd
    .uniform_work_group_size: 1
    .uses_dynamic_stack: false
    .vgpr_count:     13
    .vgpr_spill_count: 0
    .wavefront_size: 64
  - .args:
      - .address_space:  global
        .offset:         0
        .size:           8
        .value_kind:     global_buffer
      - .address_space:  global
        .offset:         8
        .size:           8
        .value_kind:     global_buffer
      - .address_space:  global
        .offset:         16
        .size:           8
        .value_kind:     global_buffer
      - .offset:         24
        .size:           8
        .value_kind:     by_value
      - .offset:         32
        .size:           8
        .value_kind:     by_value
      - .offset:         40
        .size:           8
        .value_kind:     by_value
      - .offset:         48
        .size:           8
        .value_kind:     by_value
      - .offset:         56
        .size:           4
        .value_kind:     hidden_block_count_x
      - .offset:         60
        .size:           4
        .value_kind:     hidden_block_count_y
      - .offset:         64
        .size:           4
        .value_kind:     hidden_block_count_z
      - .offset:         68
        .size:           2
        .value_kind:     hidden_group_size_x
      - .offset:         70
        .size:           2
        .value_kind:     hidden_group_size_y
      - .offset:         72
        .size:           2
        .value_kind:     hidden_group_size_z
      - .offset:         74
        .size:           2
        .value_kind:     hidden_remainder_x
      - .offset:         76
        .size:           2
        .value_kind:     hidden_remainder_y
      - .offset:         78
        .size:           2
        .value_kind:     hidden_remainder_z
      - .offset:         96
        .size:           8
        .value_kind:     hidden_global_offset_x
      - .offset:         104
        .size:           8
        .value_kind:     hidden_global_offset_y
      - .offset:         112
        .size:           8
        .value_kind:     hidden_global_offset_z
      - .offset:         120
        .size:           2
        .value_kind:     hidden_grid_dims
    .group_segment_fixed_size: 0
    .kernarg_segment_align: 8
    .kernarg_segment_size: 312
    .language:       OpenCL C
    .language_version:
      - 2
      - 0
    .max_flat_workgroup_size: 1024
    .name:           _ZL21unary_gated_op_kernelIXadL_ZL10op_sigmoidfEEfEvPKT0_S2_PS0_llll
    .private_segment_fixed_size: 0
    .sgpr_count:     31
    .sgpr_spill_count: 0
    .symbol:         _ZL21unary_gated_op_kernelIXadL_ZL10op_sigmoidfEEfEvPKT0_S2_PS0_llll.kd
    .uniform_work_group_size: 1
    .uses_dynamic_stack: false
    .vgpr_count:     13
    .vgpr_spill_count: 0
    .wavefront_size: 64
  - .args:
      - .address_space:  global
        .offset:         0
        .size:           8
        .value_kind:     global_buffer
      - .address_space:  global
        .offset:         8
        .size:           8
        .value_kind:     global_buffer
      - .address_space:  global
        .offset:         16
        .size:           8
        .value_kind:     global_buffer
      - .offset:         24
        .size:           8
        .value_kind:     by_value
      - .offset:         32
        .size:           8
        .value_kind:     by_value
      - .offset:         40
        .size:           8
        .value_kind:     by_value
      - .offset:         48
        .size:           8
        .value_kind:     by_value
      - .offset:         56
        .size:           4
        .value_kind:     hidden_block_count_x
      - .offset:         60
        .size:           4
        .value_kind:     hidden_block_count_y
      - .offset:         64
        .size:           4
        .value_kind:     hidden_block_count_z
      - .offset:         68
        .size:           2
        .value_kind:     hidden_group_size_x
      - .offset:         70
        .size:           2
        .value_kind:     hidden_group_size_y
      - .offset:         72
        .size:           2
        .value_kind:     hidden_group_size_z
      - .offset:         74
        .size:           2
        .value_kind:     hidden_remainder_x
      - .offset:         76
        .size:           2
        .value_kind:     hidden_remainder_y
      - .offset:         78
        .size:           2
        .value_kind:     hidden_remainder_z
      - .offset:         96
        .size:           8
        .value_kind:     hidden_global_offset_x
      - .offset:         104
        .size:           8
        .value_kind:     hidden_global_offset_y
      - .offset:         112
        .size:           8
        .value_kind:     hidden_global_offset_z
      - .offset:         120
        .size:           2
        .value_kind:     hidden_grid_dims
    .group_segment_fixed_size: 0
    .kernarg_segment_align: 8
    .kernarg_segment_size: 312
    .language:       OpenCL C
    .language_version:
      - 2
      - 0
    .max_flat_workgroup_size: 1024
    .name:           _ZL21unary_gated_op_kernelIXadL_ZL11op_softplusfEE6__halfEvPKT0_S3_PS1_llll
    .private_segment_fixed_size: 0
    .sgpr_count:     31
    .sgpr_spill_count: 0
    .symbol:         _ZL21unary_gated_op_kernelIXadL_ZL11op_softplusfEE6__halfEvPKT0_S3_PS1_llll.kd
    .uniform_work_group_size: 1
    .uses_dynamic_stack: false
    .vgpr_count:     13
    .vgpr_spill_count: 0
    .wavefront_size: 64
  - .args:
      - .address_space:  global
        .offset:         0
        .size:           8
        .value_kind:     global_buffer
      - .address_space:  global
        .offset:         8
        .size:           8
        .value_kind:     global_buffer
      - .address_space:  global
        .offset:         16
        .size:           8
        .value_kind:     global_buffer
      - .offset:         24
        .size:           8
        .value_kind:     by_value
      - .offset:         32
        .size:           8
        .value_kind:     by_value
      - .offset:         40
        .size:           8
        .value_kind:     by_value
      - .offset:         48
        .size:           8
        .value_kind:     by_value
      - .offset:         56
        .size:           4
        .value_kind:     hidden_block_count_x
      - .offset:         60
        .size:           4
        .value_kind:     hidden_block_count_y
      - .offset:         64
        .size:           4
        .value_kind:     hidden_block_count_z
      - .offset:         68
        .size:           2
        .value_kind:     hidden_group_size_x
      - .offset:         70
        .size:           2
        .value_kind:     hidden_group_size_y
      - .offset:         72
        .size:           2
        .value_kind:     hidden_group_size_z
      - .offset:         74
        .size:           2
        .value_kind:     hidden_remainder_x
      - .offset:         76
        .size:           2
        .value_kind:     hidden_remainder_y
      - .offset:         78
        .size:           2
        .value_kind:     hidden_remainder_z
      - .offset:         96
        .size:           8
        .value_kind:     hidden_global_offset_x
      - .offset:         104
        .size:           8
        .value_kind:     hidden_global_offset_y
      - .offset:         112
        .size:           8
        .value_kind:     hidden_global_offset_z
      - .offset:         120
        .size:           2
        .value_kind:     hidden_grid_dims
    .group_segment_fixed_size: 0
    .kernarg_segment_align: 8
    .kernarg_segment_size: 312
    .language:       OpenCL C
    .language_version:
      - 2
      - 0
    .max_flat_workgroup_size: 1024
    .name:           _ZL21unary_gated_op_kernelIXadL_ZL11op_softplusfEEfEvPKT0_S2_PS0_llll
    .private_segment_fixed_size: 0
    .sgpr_count:     31
    .sgpr_spill_count: 0
    .symbol:         _ZL21unary_gated_op_kernelIXadL_ZL11op_softplusfEEfEvPKT0_S2_PS0_llll.kd
    .uniform_work_group_size: 1
    .uses_dynamic_stack: false
    .vgpr_count:     13
    .vgpr_spill_count: 0
    .wavefront_size: 64
  - .args:
      - .address_space:  global
        .offset:         0
        .size:           8
        .value_kind:     global_buffer
      - .address_space:  global
        .offset:         8
        .size:           8
        .value_kind:     global_buffer
      - .offset:         16
        .size:           4
        .value_kind:     by_value
      - .offset:         24
        .size:           4
        .value_kind:     hidden_block_count_x
      - .offset:         28
        .size:           4
        .value_kind:     hidden_block_count_y
      - .offset:         32
        .size:           4
        .value_kind:     hidden_block_count_z
      - .offset:         36
        .size:           2
        .value_kind:     hidden_group_size_x
      - .offset:         38
        .size:           2
        .value_kind:     hidden_group_size_y
      - .offset:         40
        .size:           2
        .value_kind:     hidden_group_size_z
      - .offset:         42
        .size:           2
        .value_kind:     hidden_remainder_x
      - .offset:         44
        .size:           2
        .value_kind:     hidden_remainder_y
      - .offset:         46
        .size:           2
        .value_kind:     hidden_remainder_z
      - .offset:         64
        .size:           8
        .value_kind:     hidden_global_offset_x
      - .offset:         72
        .size:           8
        .value_kind:     hidden_global_offset_y
      - .offset:         80
        .size:           8
        .value_kind:     hidden_global_offset_z
      - .offset:         88
        .size:           2
        .value_kind:     hidden_grid_dims
    .group_segment_fixed_size: 0
    .kernarg_segment_align: 8
    .kernarg_segment_size: 280
    .language:       OpenCL C
    .language_version:
      - 2
      - 0
    .max_flat_workgroup_size: 1024
    .name:           _ZL15unary_op_kernelIXadL_ZL11op_relu_sqrfEE6__halfEvPKT0_PS1_i
    .private_segment_fixed_size: 0
    .sgpr_count:     11
    .sgpr_spill_count: 0
    .symbol:         _ZL15unary_op_kernelIXadL_ZL11op_relu_sqrfEE6__halfEvPKT0_PS1_i.kd
    .uniform_work_group_size: 1
    .uses_dynamic_stack: false
    .vgpr_count:     4
    .vgpr_spill_count: 0
    .wavefront_size: 64
  - .args:
      - .address_space:  global
        .offset:         0
        .size:           8
        .value_kind:     global_buffer
      - .address_space:  global
        .offset:         8
        .size:           8
        .value_kind:     global_buffer
      - .offset:         16
        .size:           4
        .value_kind:     by_value
      - .offset:         24
        .size:           4
        .value_kind:     hidden_block_count_x
      - .offset:         28
        .size:           4
        .value_kind:     hidden_block_count_y
      - .offset:         32
        .size:           4
        .value_kind:     hidden_block_count_z
      - .offset:         36
        .size:           2
        .value_kind:     hidden_group_size_x
      - .offset:         38
        .size:           2
        .value_kind:     hidden_group_size_y
      - .offset:         40
        .size:           2
        .value_kind:     hidden_group_size_z
      - .offset:         42
        .size:           2
        .value_kind:     hidden_remainder_x
      - .offset:         44
        .size:           2
        .value_kind:     hidden_remainder_y
      - .offset:         46
        .size:           2
        .value_kind:     hidden_remainder_z
      - .offset:         64
        .size:           8
        .value_kind:     hidden_global_offset_x
      - .offset:         72
        .size:           8
        .value_kind:     hidden_global_offset_y
      - .offset:         80
        .size:           8
        .value_kind:     hidden_global_offset_z
      - .offset:         88
        .size:           2
        .value_kind:     hidden_grid_dims
    .group_segment_fixed_size: 0
    .kernarg_segment_align: 8
    .kernarg_segment_size: 280
    .language:       OpenCL C
    .language_version:
      - 2
      - 0
    .max_flat_workgroup_size: 1024
    .name:           _ZL15unary_op_kernelIXadL_ZL11op_relu_sqrfEEfEvPKT0_PS0_i
    .private_segment_fixed_size: 0
    .sgpr_count:     11
    .sgpr_spill_count: 0
    .symbol:         _ZL15unary_op_kernelIXadL_ZL11op_relu_sqrfEEfEvPKT0_PS0_i.kd
    .uniform_work_group_size: 1
    .uses_dynamic_stack: false
    .vgpr_count:     4
    .vgpr_spill_count: 0
    .wavefront_size: 64
amdhsa.target:   amdgcn-amd-amdhsa--gfx906
amdhsa.version:
  - 1
  - 2
...

	.end_amdgpu_metadata
